;; amdgpu-corpus repo=ROCm/rocFFT kind=compiled arch=gfx1030 opt=O3
	.text
	.amdgcn_target "amdgcn-amd-amdhsa--gfx1030"
	.amdhsa_code_object_version 6
	.protected	fft_rtc_fwd_len714_factors_3_17_7_2_wgs_51_tpt_51_halfLds_sp_op_CI_CI_unitstride_sbrr_dirReg ; -- Begin function fft_rtc_fwd_len714_factors_3_17_7_2_wgs_51_tpt_51_halfLds_sp_op_CI_CI_unitstride_sbrr_dirReg
	.globl	fft_rtc_fwd_len714_factors_3_17_7_2_wgs_51_tpt_51_halfLds_sp_op_CI_CI_unitstride_sbrr_dirReg
	.p2align	8
	.type	fft_rtc_fwd_len714_factors_3_17_7_2_wgs_51_tpt_51_halfLds_sp_op_CI_CI_unitstride_sbrr_dirReg,@function
fft_rtc_fwd_len714_factors_3_17_7_2_wgs_51_tpt_51_halfLds_sp_op_CI_CI_unitstride_sbrr_dirReg: ; @fft_rtc_fwd_len714_factors_3_17_7_2_wgs_51_tpt_51_halfLds_sp_op_CI_CI_unitstride_sbrr_dirReg
; %bb.0:
	s_clause 0x2
	s_load_dwordx4 s[12:15], s[4:5], 0x0
	s_load_dwordx4 s[8:11], s[4:5], 0x58
	;; [unrolled: 1-line block ×3, first 2 shown]
	v_mul_u32_u24_e32 v1, 0x506, v0
	v_mov_b32_e32 v3, 0
	v_mov_b32_e32 v7, 0
	;; [unrolled: 1-line block ×3, first 2 shown]
	v_add_nc_u32_sdwa v9, s6, v1 dst_sel:DWORD dst_unused:UNUSED_PAD src0_sel:DWORD src1_sel:WORD_1
	v_mov_b32_e32 v10, v3
	s_waitcnt lgkmcnt(0)
	v_cmp_lt_u64_e64 s0, s[14:15], 2
	s_and_b32 vcc_lo, exec_lo, s0
	s_cbranch_vccnz .LBB0_8
; %bb.1:
	s_load_dwordx2 s[0:1], s[4:5], 0x10
	v_mov_b32_e32 v7, 0
	v_mov_b32_e32 v8, 0
	s_add_u32 s2, s18, 8
	s_addc_u32 s3, s19, 0
	v_mov_b32_e32 v1, v7
	s_add_u32 s6, s16, 8
	v_mov_b32_e32 v2, v8
	s_addc_u32 s7, s17, 0
	s_mov_b64 s[22:23], 1
	s_waitcnt lgkmcnt(0)
	s_add_u32 s20, s0, 8
	s_addc_u32 s21, s1, 0
.LBB0_2:                                ; =>This Inner Loop Header: Depth=1
	s_load_dwordx2 s[24:25], s[20:21], 0x0
                                        ; implicit-def: $vgpr5_vgpr6
	s_mov_b32 s0, exec_lo
	s_waitcnt lgkmcnt(0)
	v_or_b32_e32 v4, s25, v10
	v_cmpx_ne_u64_e32 0, v[3:4]
	s_xor_b32 s1, exec_lo, s0
	s_cbranch_execz .LBB0_4
; %bb.3:                                ;   in Loop: Header=BB0_2 Depth=1
	v_cvt_f32_u32_e32 v4, s24
	v_cvt_f32_u32_e32 v5, s25
	s_sub_u32 s0, 0, s24
	s_subb_u32 s26, 0, s25
	v_fmac_f32_e32 v4, 0x4f800000, v5
	v_rcp_f32_e32 v4, v4
	v_mul_f32_e32 v4, 0x5f7ffffc, v4
	v_mul_f32_e32 v5, 0x2f800000, v4
	v_trunc_f32_e32 v5, v5
	v_fmac_f32_e32 v4, 0xcf800000, v5
	v_cvt_u32_f32_e32 v5, v5
	v_cvt_u32_f32_e32 v4, v4
	v_mul_lo_u32 v6, s0, v5
	v_mul_hi_u32 v11, s0, v4
	v_mul_lo_u32 v12, s26, v4
	v_add_nc_u32_e32 v6, v11, v6
	v_mul_lo_u32 v11, s0, v4
	v_add_nc_u32_e32 v6, v6, v12
	v_mul_hi_u32 v12, v4, v11
	v_mul_lo_u32 v13, v4, v6
	v_mul_hi_u32 v14, v4, v6
	v_mul_hi_u32 v15, v5, v11
	v_mul_lo_u32 v11, v5, v11
	v_mul_hi_u32 v16, v5, v6
	v_mul_lo_u32 v6, v5, v6
	v_add_co_u32 v12, vcc_lo, v12, v13
	v_add_co_ci_u32_e32 v13, vcc_lo, 0, v14, vcc_lo
	v_add_co_u32 v11, vcc_lo, v12, v11
	v_add_co_ci_u32_e32 v11, vcc_lo, v13, v15, vcc_lo
	v_add_co_ci_u32_e32 v12, vcc_lo, 0, v16, vcc_lo
	v_add_co_u32 v6, vcc_lo, v11, v6
	v_add_co_ci_u32_e32 v11, vcc_lo, 0, v12, vcc_lo
	v_add_co_u32 v4, vcc_lo, v4, v6
	v_add_co_ci_u32_e32 v5, vcc_lo, v5, v11, vcc_lo
	v_mul_hi_u32 v6, s0, v4
	v_mul_lo_u32 v12, s26, v4
	v_mul_lo_u32 v11, s0, v5
	v_add_nc_u32_e32 v6, v6, v11
	v_mul_lo_u32 v11, s0, v4
	v_add_nc_u32_e32 v6, v6, v12
	v_mul_hi_u32 v12, v4, v11
	v_mul_lo_u32 v13, v4, v6
	v_mul_hi_u32 v14, v4, v6
	v_mul_hi_u32 v15, v5, v11
	v_mul_lo_u32 v11, v5, v11
	v_mul_hi_u32 v16, v5, v6
	v_mul_lo_u32 v6, v5, v6
	v_add_co_u32 v12, vcc_lo, v12, v13
	v_add_co_ci_u32_e32 v13, vcc_lo, 0, v14, vcc_lo
	v_add_co_u32 v11, vcc_lo, v12, v11
	v_add_co_ci_u32_e32 v11, vcc_lo, v13, v15, vcc_lo
	v_add_co_ci_u32_e32 v12, vcc_lo, 0, v16, vcc_lo
	v_add_co_u32 v6, vcc_lo, v11, v6
	v_add_co_ci_u32_e32 v11, vcc_lo, 0, v12, vcc_lo
	v_add_co_u32 v6, vcc_lo, v4, v6
	v_add_co_ci_u32_e32 v13, vcc_lo, v5, v11, vcc_lo
	v_mul_hi_u32 v15, v9, v6
	v_mad_u64_u32 v[11:12], null, v10, v6, 0
	v_mad_u64_u32 v[4:5], null, v9, v13, 0
	;; [unrolled: 1-line block ×3, first 2 shown]
	v_add_co_u32 v4, vcc_lo, v15, v4
	v_add_co_ci_u32_e32 v5, vcc_lo, 0, v5, vcc_lo
	v_add_co_u32 v4, vcc_lo, v4, v11
	v_add_co_ci_u32_e32 v4, vcc_lo, v5, v12, vcc_lo
	v_add_co_ci_u32_e32 v5, vcc_lo, 0, v14, vcc_lo
	v_add_co_u32 v11, vcc_lo, v4, v13
	v_add_co_ci_u32_e32 v6, vcc_lo, 0, v5, vcc_lo
	v_mul_lo_u32 v12, s25, v11
	v_mad_u64_u32 v[4:5], null, s24, v11, 0
	v_mul_lo_u32 v13, s24, v6
	v_sub_co_u32 v4, vcc_lo, v9, v4
	v_add3_u32 v5, v5, v13, v12
	v_sub_nc_u32_e32 v12, v10, v5
	v_subrev_co_ci_u32_e64 v12, s0, s25, v12, vcc_lo
	v_add_co_u32 v13, s0, v11, 2
	v_add_co_ci_u32_e64 v14, s0, 0, v6, s0
	v_sub_co_u32 v15, s0, v4, s24
	v_sub_co_ci_u32_e32 v5, vcc_lo, v10, v5, vcc_lo
	v_subrev_co_ci_u32_e64 v12, s0, 0, v12, s0
	v_cmp_le_u32_e32 vcc_lo, s24, v15
	v_cmp_eq_u32_e64 s0, s25, v5
	v_cndmask_b32_e64 v15, 0, -1, vcc_lo
	v_cmp_le_u32_e32 vcc_lo, s25, v12
	v_cndmask_b32_e64 v16, 0, -1, vcc_lo
	v_cmp_le_u32_e32 vcc_lo, s24, v4
	;; [unrolled: 2-line block ×3, first 2 shown]
	v_cndmask_b32_e64 v17, 0, -1, vcc_lo
	v_cmp_eq_u32_e32 vcc_lo, s25, v12
	v_cndmask_b32_e64 v4, v17, v4, s0
	v_cndmask_b32_e32 v12, v16, v15, vcc_lo
	v_add_co_u32 v15, vcc_lo, v11, 1
	v_add_co_ci_u32_e32 v16, vcc_lo, 0, v6, vcc_lo
	v_cmp_ne_u32_e32 vcc_lo, 0, v12
	v_cndmask_b32_e32 v5, v16, v14, vcc_lo
	v_cndmask_b32_e32 v12, v15, v13, vcc_lo
	v_cmp_ne_u32_e32 vcc_lo, 0, v4
	v_cndmask_b32_e32 v6, v6, v5, vcc_lo
	v_cndmask_b32_e32 v5, v11, v12, vcc_lo
.LBB0_4:                                ;   in Loop: Header=BB0_2 Depth=1
	s_andn2_saveexec_b32 s0, s1
	s_cbranch_execz .LBB0_6
; %bb.5:                                ;   in Loop: Header=BB0_2 Depth=1
	v_cvt_f32_u32_e32 v4, s24
	s_sub_i32 s1, 0, s24
	v_rcp_iflag_f32_e32 v4, v4
	v_mul_f32_e32 v4, 0x4f7ffffe, v4
	v_cvt_u32_f32_e32 v4, v4
	v_mul_lo_u32 v5, s1, v4
	v_mul_hi_u32 v5, v4, v5
	v_add_nc_u32_e32 v4, v4, v5
	v_mul_hi_u32 v4, v9, v4
	v_mul_lo_u32 v5, v4, s24
	v_add_nc_u32_e32 v6, 1, v4
	v_sub_nc_u32_e32 v5, v9, v5
	v_subrev_nc_u32_e32 v11, s24, v5
	v_cmp_le_u32_e32 vcc_lo, s24, v5
	v_cndmask_b32_e32 v5, v5, v11, vcc_lo
	v_cndmask_b32_e32 v4, v4, v6, vcc_lo
	v_cmp_le_u32_e32 vcc_lo, s24, v5
	v_add_nc_u32_e32 v6, 1, v4
	v_cndmask_b32_e32 v5, v4, v6, vcc_lo
	v_mov_b32_e32 v6, v3
.LBB0_6:                                ;   in Loop: Header=BB0_2 Depth=1
	s_or_b32 exec_lo, exec_lo, s0
	v_mul_lo_u32 v4, v6, s24
	v_mul_lo_u32 v13, v5, s25
	s_load_dwordx2 s[0:1], s[6:7], 0x0
	v_mad_u64_u32 v[11:12], null, v5, s24, 0
	s_load_dwordx2 s[24:25], s[2:3], 0x0
	s_add_u32 s22, s22, 1
	s_addc_u32 s23, s23, 0
	s_add_u32 s2, s2, 8
	s_addc_u32 s3, s3, 0
	s_add_u32 s6, s6, 8
	v_add3_u32 v4, v12, v13, v4
	v_sub_co_u32 v9, vcc_lo, v9, v11
	s_addc_u32 s7, s7, 0
	s_add_u32 s20, s20, 8
	v_sub_co_ci_u32_e32 v4, vcc_lo, v10, v4, vcc_lo
	s_addc_u32 s21, s21, 0
	s_waitcnt lgkmcnt(0)
	v_mul_lo_u32 v10, s0, v4
	v_mul_lo_u32 v11, s1, v9
	v_mad_u64_u32 v[7:8], null, s0, v9, v[7:8]
	v_mul_lo_u32 v4, s24, v4
	v_mul_lo_u32 v12, s25, v9
	v_mad_u64_u32 v[1:2], null, s24, v9, v[1:2]
	v_cmp_ge_u64_e64 s0, s[22:23], s[14:15]
	v_add3_u32 v8, v11, v8, v10
	v_add3_u32 v2, v12, v2, v4
	s_and_b32 vcc_lo, exec_lo, s0
	s_cbranch_vccnz .LBB0_9
; %bb.7:                                ;   in Loop: Header=BB0_2 Depth=1
	v_mov_b32_e32 v10, v6
	v_mov_b32_e32 v9, v5
	s_branch .LBB0_2
.LBB0_8:
	v_mov_b32_e32 v1, v7
	v_mov_b32_e32 v5, v9
	;; [unrolled: 1-line block ×4, first 2 shown]
.LBB0_9:
	s_load_dwordx2 s[0:1], s[4:5], 0x28
	v_mul_hi_u32 v4, 0x5050506, v0
	s_lshl_b64 s[4:5], s[14:15], 3
                                        ; implicit-def: $vgpr3
	s_add_u32 s2, s18, s4
	s_addc_u32 s3, s19, s5
	s_waitcnt lgkmcnt(0)
	v_cmp_gt_u64_e32 vcc_lo, s[0:1], v[5:6]
	v_cmp_le_u64_e64 s0, s[0:1], v[5:6]
	s_and_saveexec_b32 s1, s0
	s_xor_b32 s0, exec_lo, s1
; %bb.10:
	v_mul_u32_u24_e32 v3, 51, v4
                                        ; implicit-def: $vgpr4
                                        ; implicit-def: $vgpr7_vgpr8
	v_sub_nc_u32_e32 v3, v0, v3
                                        ; implicit-def: $vgpr0
; %bb.11:
	s_or_saveexec_b32 s1, s0
	s_load_dwordx2 s[2:3], s[2:3], 0x0
                                        ; implicit-def: $vgpr12
                                        ; implicit-def: $vgpr54
                                        ; implicit-def: $vgpr52
                                        ; implicit-def: $vgpr20
                                        ; implicit-def: $vgpr46
                                        ; implicit-def: $vgpr50
                                        ; implicit-def: $vgpr16
                                        ; implicit-def: $vgpr44
                                        ; implicit-def: $vgpr48
                                        ; implicit-def: $vgpr14
                                        ; implicit-def: $vgpr36
                                        ; implicit-def: $vgpr38
                                        ; implicit-def: $vgpr18
                                        ; implicit-def: $vgpr42
                                        ; implicit-def: $vgpr40
	s_xor_b32 exec_lo, exec_lo, s1
	s_cbranch_execz .LBB0_15
; %bb.12:
	s_add_u32 s4, s16, s4
	s_addc_u32 s5, s17, s5
	v_lshlrev_b64 v[7:8], 3, v[7:8]
	s_load_dwordx2 s[4:5], s[4:5], 0x0
                                        ; implicit-def: $vgpr39
                                        ; implicit-def: $vgpr41
                                        ; implicit-def: $vgpr17
	s_waitcnt lgkmcnt(0)
	v_mul_lo_u32 v3, s5, v5
	v_mul_lo_u32 v11, s4, v6
	v_mad_u64_u32 v[9:10], null, s4, v5, 0
	s_mov_b32 s4, exec_lo
	v_add3_u32 v10, v10, v11, v3
	v_mul_u32_u24_e32 v3, 51, v4
	v_lshlrev_b64 v[9:10], 3, v[9:10]
	v_sub_nc_u32_e32 v3, v0, v3
	v_add_co_u32 v0, s0, s8, v9
	v_add_co_ci_u32_e64 v4, s0, s9, v10, s0
	v_lshlrev_b32_e32 v9, 3, v3
	v_add_co_u32 v0, s0, v0, v7
	v_add_co_ci_u32_e64 v4, s0, v4, v8, s0
	v_add_co_u32 v7, s0, v0, v9
	v_add_co_ci_u32_e64 v8, s0, 0, v4, s0
	;; [unrolled: 2-line block ×4, first 2 shown]
	s_clause 0xb
	global_load_dwordx2 v[11:12], v[7:8], off
	global_load_dwordx2 v[19:20], v[7:8], off offset:408
	global_load_dwordx2 v[15:16], v[7:8], off offset:816
	;; [unrolled: 1-line block ×11, first 2 shown]
	v_cmpx_gt_u32_e32 34, v3
; %bb.13:
	s_clause 0x2
	global_load_dwordx2 v[17:18], v[7:8], off offset:1632
	global_load_dwordx2 v[39:40], v[9:10], off offset:1488
	;; [unrolled: 1-line block ×3, first 2 shown]
; %bb.14:
	s_or_b32 exec_lo, exec_lo, s4
.LBB0_15:
	s_or_b32 exec_lo, exec_lo, s1
	s_waitcnt vmcnt(3)
	v_add_f32_e32 v0, v53, v51
	v_add_f32_e32 v4, v11, v53
	v_sub_f32_e32 v7, v54, v52
	s_waitcnt vmcnt(2)
	v_add_f32_e32 v8, v45, v49
	s_waitcnt vmcnt(1)
	v_add_f32_e32 v21, v43, v47
	v_fmac_f32_e32 v11, -0.5, v0
	v_add_f32_e32 v0, v19, v45
	v_add_f32_e32 v9, v4, v51
	v_fmac_f32_e32 v19, -0.5, v8
	v_sub_f32_e32 v4, v46, v50
	v_fmamk_f32 v10, v7, 0x3f5db3d7, v11
	v_fmac_f32_e32 v11, 0xbf5db3d7, v7
	v_add_f32_e32 v26, v0, v49
	v_add_f32_e32 v0, v15, v43
	v_fmac_f32_e32 v15, -0.5, v21
	v_sub_f32_e32 v7, v44, v48
	v_fmamk_f32 v31, v4, 0x3f5db3d7, v19
	v_fmac_f32_e32 v19, 0xbf5db3d7, v4
	v_add_f32_e32 v21, v0, v47
	s_waitcnt vmcnt(0)
	v_add_f32_e32 v0, v35, v37
	v_fmamk_f32 v22, v7, 0x3f5db3d7, v15
	v_add_f32_e32 v4, v13, v35
	v_fmac_f32_e32 v15, 0xbf5db3d7, v7
	v_add_f32_e32 v7, v41, v39
	v_fmac_f32_e32 v13, -0.5, v0
	v_sub_f32_e32 v8, v36, v38
	v_add_f32_e32 v24, v4, v37
	v_add_f32_e32 v4, v17, v39
	v_fmac_f32_e32 v17, -0.5, v7
	v_sub_f32_e32 v7, v40, v42
	v_mad_u32_u24 v0, v3, 12, 0
	v_fmamk_f32 v27, v8, 0x3f5db3d7, v13
	v_fmac_f32_e32 v13, 0xbf5db3d7, v8
	v_add_f32_e32 v29, v41, v4
	v_fmamk_f32 v30, v7, 0x3f5db3d7, v17
	v_fmac_f32_e32 v17, 0xbf5db3d7, v7
	v_add_nc_u32_e32 v55, 0x4c8, v0
	v_add_nc_u32_e32 v56, 0x72c, v0
	v_cmp_gt_u32_e64 s1, 34, v3
	v_add_nc_u32_e32 v4, 0x990, v0
	v_add_nc_u32_e32 v7, 0x400, v0
	ds_write2_b32 v0, v9, v10 offset1:1
	ds_write2_b32 v0, v26, v31 offset0:153 offset1:154
	ds_write2_b32 v0, v11, v19 offset0:2 offset1:155
	ds_write2_b32 v55, v21, v22 offset1:1
	ds_write2_b32 v56, v24, v27 offset1:1
	ds_write2_b32 v7, v15, v13 offset0:52 offset1:205
	s_and_saveexec_b32 s0, s1
	s_cbranch_execz .LBB0_17
; %bb.16:
	ds_write2_b32 v4, v29, v30 offset1:1
	ds_write_b32 v0, v17 offset:2456
.LBB0_17:
	s_or_b32 exec_lo, exec_lo, s0
	v_cmp_gt_u32_e64 s0, 42, v3
	s_waitcnt lgkmcnt(0)
	s_barrier
	buffer_gl0_inv
                                        ; implicit-def: $vgpr59
                                        ; implicit-def: $vgpr34
	s_and_saveexec_b32 s4, s0
	s_cbranch_execz .LBB0_19
; %bb.18:
	v_lshlrev_b32_e32 v7, 3, v3
	v_sub_nc_u32_e32 v7, v0, v7
	v_add_nc_u32_e32 v8, 0x400, v7
	ds_read2_b32 v[25:26], v7 offset0:84 offset1:126
	ds_read2_b32 v[31:32], v7 offset0:168 offset1:210
	v_add_nc_u32_e32 v9, 0x800, v7
	v_add_nc_u32_e32 v11, 0x200, v7
	;; [unrolled: 1-line block ×3, first 2 shown]
	ds_read2_b32 v[23:24], v8 offset0:80 offset1:122
	ds_read2_b32 v[27:28], v8 offset0:164 offset1:206
	;; [unrolled: 1-line block ×3, first 2 shown]
	ds_read2_b32 v[9:10], v7 offset1:42
	ds_read_b32 v59, v7 offset:2688
	ds_read2_b32 v[21:22], v11 offset0:124 offset1:166
	ds_read2_b32 v[29:30], v13 offset0:120 offset1:162
	s_waitcnt lgkmcnt(6)
	v_mov_b32_e32 v15, v23
	v_mov_b32_e32 v11, v25
	;; [unrolled: 1-line block ×3, first 2 shown]
	s_waitcnt lgkmcnt(5)
	v_mov_b32_e32 v13, v28
	s_waitcnt lgkmcnt(4)
	v_mov_b32_e32 v17, v33
.LBB0_19:
	s_or_b32 exec_lo, exec_lo, s4
	v_add_f32_e32 v7, v54, v52
	v_add_f32_e32 v8, v12, v54
	v_sub_f32_e32 v23, v53, v51
	v_add_f32_e32 v25, v46, v50
	v_add_f32_e32 v28, v20, v46
	v_fmac_f32_e32 v12, -0.5, v7
	v_add_f32_e32 v32, v44, v48
	v_add_f32_e32 v7, v8, v52
	v_fmac_f32_e32 v20, -0.5, v25
	v_add_f32_e32 v25, v16, v44
	v_fmamk_f32 v8, v23, 0xbf5db3d7, v12
	v_fmac_f32_e32 v12, 0x3f5db3d7, v23
	v_sub_f32_e32 v23, v45, v49
	v_add_f32_e32 v45, v28, v50
	v_fmac_f32_e32 v16, -0.5, v32
	v_sub_f32_e32 v28, v43, v47
	v_add_f32_e32 v32, v25, v48
	v_fmamk_f32 v46, v23, 0xbf5db3d7, v20
	v_fmac_f32_e32 v20, 0x3f5db3d7, v23
	v_add_f32_e32 v23, v36, v38
	v_add_f32_e32 v25, v42, v40
	v_fmamk_f32 v33, v28, 0xbf5db3d7, v16
	v_fmac_f32_e32 v16, 0x3f5db3d7, v28
	v_add_f32_e32 v28, v14, v36
	v_fmac_f32_e32 v14, -0.5, v23
	v_sub_f32_e32 v23, v35, v37
	v_add_f32_e32 v35, v18, v40
	v_fmac_f32_e32 v18, -0.5, v25
	v_sub_f32_e32 v25, v39, v41
	v_add_f32_e32 v36, v28, v38
	v_fmamk_f32 v37, v23, 0xbf5db3d7, v14
	v_fmac_f32_e32 v14, 0x3f5db3d7, v23
	v_add_f32_e32 v39, v42, v35
	v_fmamk_f32 v40, v25, 0xbf5db3d7, v18
	v_fmac_f32_e32 v18, 0x3f5db3d7, v25
	v_add_nc_u32_e32 v23, 0x400, v0
	s_waitcnt lgkmcnt(0)
	s_barrier
	buffer_gl0_inv
	ds_write2_b32 v0, v7, v8 offset1:1
	ds_write2_b32 v0, v45, v46 offset0:153 offset1:154
	ds_write2_b32 v0, v12, v20 offset0:2 offset1:155
	ds_write2_b32 v55, v32, v33 offset1:1
	ds_write2_b32 v56, v36, v37 offset1:1
	ds_write2_b32 v23, v16, v14 offset0:52 offset1:205
	s_and_saveexec_b32 s4, s1
	s_cbranch_execz .LBB0_21
; %bb.20:
	ds_write2_b32 v4, v39, v40 offset1:1
	ds_write_b32 v0, v18 offset:2456
.LBB0_21:
	s_or_b32 exec_lo, exec_lo, s4
	v_lshl_add_u32 v0, v3, 2, 0
	s_waitcnt lgkmcnt(0)
	s_barrier
	buffer_gl0_inv
                                        ; implicit-def: $vgpr60
                                        ; implicit-def: $vgpr42
	s_and_saveexec_b32 s1, s0
	s_cbranch_execz .LBB0_23
; %bb.22:
	v_add_nc_u32_e32 v4, 0x400, v0
	v_add_nc_u32_e32 v7, 0x800, v0
	ds_read2_b32 v[44:45], v0 offset0:84 offset1:126
	ds_read2_b32 v[46:47], v0 offset0:168 offset1:210
	v_add_nc_u32_e32 v12, 0x200, v0
	ds_read2_b32 v[35:36], v4 offset0:80 offset1:122
	ds_read2_b32 v[37:38], v4 offset0:164 offset1:206
	ds_read2_b32 v[41:42], v7 offset0:76 offset1:118
	v_add_nc_u32_e32 v4, 0x600, v0
	ds_read2_b32 v[7:8], v0 offset1:42
	ds_read_b32 v60, v0 offset:2688
	ds_read2_b32 v[32:33], v12 offset0:124 offset1:166
	ds_read2_b32 v[39:40], v4 offset0:120 offset1:162
	s_waitcnt lgkmcnt(8)
	v_mov_b32_e32 v12, v44
	s_waitcnt lgkmcnt(7)
	v_mov_b32_e32 v20, v47
	;; [unrolled: 2-line block ×5, first 2 shown]
.LBB0_23:
	s_or_b32 exec_lo, exec_lo, s1
	v_and_b32_e32 v4, 0xff, v3
	v_mov_b32_e32 v25, 7
	v_mul_lo_u16 v4, 0xab, v4
	v_lshrrev_b16 v4, 9, v4
	v_mul_lo_u16 v23, v4, 3
	v_sub_nc_u16 v23, v3, v23
	v_lshlrev_b32_sdwa v25, v25, v23 dst_sel:DWORD dst_unused:UNUSED_PAD src0_sel:DWORD src1_sel:BYTE_0
	s_clause 0x7
	global_load_dwordx4 v[52:55], v25, s[12:13] offset:16
	global_load_dwordx4 v[61:64], v25, s[12:13] offset:32
	;; [unrolled: 1-line block ×4, first 2 shown]
	global_load_dwordx4 v[73:76], v25, s[12:13]
	global_load_dwordx4 v[77:80], v25, s[12:13] offset:80
	global_load_dwordx4 v[81:84], v25, s[12:13] offset:96
	;; [unrolled: 1-line block ×3, first 2 shown]
	s_waitcnt vmcnt(0) lgkmcnt(0)
	s_barrier
	buffer_gl0_inv
	v_mul_f32_e32 v35, v45, v53
	v_mul_f32_e32 v50, v26, v53
	;; [unrolled: 1-line block ×12, first 2 shown]
	v_fma_f32 v51, v26, v52, -v35
	v_mul_f32_e32 v62, v36, v70
	v_mul_f32_e32 v26, v24, v70
	v_fmac_f32_e32 v50, v45, v52
	v_mul_f32_e32 v64, v37, v72
	v_mul_f32_e32 v35, v27, v72
	v_fma_f32 v48, v31, v54, -v41
	v_mul_f32_e32 v66, v12, v76
	v_mul_f32_e32 v55, v11, v76
	v_fmac_f32_e32 v47, v46, v54
	v_mul_f32_e32 v68, v8, v74
	v_mul_f32_e32 v56, v10, v74
	;; [unrolled: 1-line block ×6, first 2 shown]
	v_fma_f32 v46, v19, v61, -v43
	v_fmac_f32_e32 v44, v20, v61
	v_mul_f32_e32 v19, v40, v82
	v_mul_f32_e32 v49, v30, v82
	v_fma_f32 v43, v21, v63, -v53
	v_mul_f32_e32 v20, v18, v84
	v_mul_f32_e32 v52, v17, v84
	;; [unrolled: 1-line block ×6, first 2 shown]
	v_fmac_f32_e32 v38, v32, v63
	v_fma_f32 v31, v22, v65, -v57
	v_fmac_f32_e32 v28, v33, v65
	v_fma_f32 v22, v15, v67, -v58
	;; [unrolled: 2-line block ×12, first 2 shown]
	v_fmac_f32_e32 v54, v60, v87
	s_and_saveexec_b32 s1, s0
	s_cbranch_execz .LBB0_25
; %bb.24:
	v_sub_f32_e32 v19, v56, v54
	v_add_f32_e32 v17, v58, v40
	v_sub_f32_e32 v18, v55, v53
	v_add_f32_e32 v13, v57, v34
	v_sub_f32_e32 v16, v50, v52
	v_mul_f32_e32 v20, 0xbe3c28d5, v19
	v_add_f32_e32 v12, v51, v39
	v_mul_f32_e32 v21, 0x3eb8f4ab, v18
	v_sub_f32_e32 v14, v47, v49
	v_mul_f32_e32 v29, 0xbf06c442, v16
	v_fmamk_f32 v8, v17, 0xbf7ba420, v20
	v_fma_f32 v20, 0xbf7ba420, v17, -v20
	v_fma_f32 v61, 0x3f6eb680, v13, -v21
	v_add_f32_e32 v11, v48, v37
	v_fmamk_f32 v30, v13, 0x3f6eb680, v21
	v_add_f32_e32 v33, v9, v8
	v_add_f32_e32 v20, v9, v20
	v_mul_f32_e32 v42, 0x3f2c7751, v14
	v_fma_f32 v62, 0xbf59a7d5, v12, -v29
	v_sub_f32_e32 v15, v44, v45
	v_fmamk_f32 v59, v12, 0xbf59a7d5, v29
	v_add_f32_e32 v20, v61, v20
	v_add_f32_e32 v30, v30, v33
	v_fmamk_f32 v33, v11, 0x3f3d2fb0, v42
	v_fma_f32 v42, 0x3f3d2fb0, v11, -v42
	v_mul_f32_e32 v63, 0xbf06c442, v19
	v_add_f32_e32 v62, v62, v20
	v_add_f32_e32 v10, v46, v36
	v_mul_f32_e32 v60, 0xbf4c4adb, v15
	v_add_f32_e32 v30, v59, v30
	v_sub_f32_e32 v21, v38, v41
	v_add_f32_e32 v42, v42, v62
	v_fmamk_f32 v62, v17, 0xbf59a7d5, v63
	v_mul_f32_e32 v65, 0x3f65296c, v18
	v_add_f32_e32 v8, v43, v32
	v_fmamk_f32 v59, v10, 0xbf1a4643, v60
	v_add_f32_e32 v30, v33, v30
	v_mul_f32_e32 v61, 0x3f65296c, v21
	v_fma_f32 v60, 0xbf1a4643, v10, -v60
	v_add_f32_e32 v62, v9, v62
	v_fmamk_f32 v67, v13, 0x3ee437d1, v65
	v_mul_f32_e32 v68, 0xbf7ee86f, v16
	v_sub_f32_e32 v29, v28, v35
	v_add_f32_e32 v30, v59, v30
	v_fmamk_f32 v59, v8, 0x3ee437d1, v61
	v_add_f32_e32 v42, v60, v42
	v_fma_f32 v60, 0x3ee437d1, v8, -v61
	v_add_f32_e32 v61, v67, v62
	v_fmamk_f32 v62, v12, 0x3dbcf732, v68
	v_mul_f32_e32 v67, 0x3f4c4adb, v14
	v_fma_f32 v63, 0xbf59a7d5, v17, -v63
	v_add_f32_e32 v20, v31, v27
	v_mul_f32_e32 v64, 0xbf763a35, v29
	v_sub_f32_e32 v33, v25, v26
	v_add_f32_e32 v61, v62, v61
	v_fmamk_f32 v62, v11, 0xbf1a4643, v67
	v_mul_f32_e32 v70, 0xbeb8f4ab, v15
	v_add_f32_e32 v63, v9, v63
	v_fma_f32 v65, 0x3ee437d1, v13, -v65
	v_add_f32_e32 v59, v59, v30
	v_fmamk_f32 v66, v20, 0xbe8c1d8e, v64
	v_add_f32_e32 v30, v22, v24
	v_mul_f32_e32 v69, 0x3f7ee86f, v33
	v_add_f32_e32 v60, v60, v42
	v_add_f32_e32 v42, v62, v61
	v_fmamk_f32 v61, v10, 0x3f6eb680, v70
	v_mul_f32_e32 v62, 0xbe3c28d5, v21
	v_add_f32_e32 v63, v65, v63
	v_fma_f32 v65, 0x3dbcf732, v12, -v68
	v_add_f32_e32 v59, v66, v59
	v_fmamk_f32 v66, v30, 0x3dbcf732, v69
	v_add_f32_e32 v61, v61, v42
	v_fmamk_f32 v68, v8, 0xbf7ba420, v62
	v_mul_f32_e32 v71, 0x3f2c7751, v29
	v_add_f32_e32 v63, v65, v63
	v_fma_f32 v65, 0xbf1a4643, v11, -v67
	v_fma_f32 v64, 0xbe8c1d8e, v20, -v64
	v_add_f32_e32 v42, v66, v59
	v_add_f32_e32 v59, v68, v61
	v_fmamk_f32 v61, v20, 0x3f3d2fb0, v71
	v_mul_f32_e32 v66, 0xbf4c4adb, v19
	v_add_f32_e32 v63, v65, v63
	v_fma_f32 v65, 0x3f6eb680, v10, -v70
	v_add_f32_e32 v60, v64, v60
	v_add_f32_e32 v59, v61, v59
	v_fmamk_f32 v61, v17, 0xbf1a4643, v66
	v_mul_f32_e32 v64, 0x3f763a35, v18
	v_add_f32_e32 v63, v65, v63
	v_fma_f32 v62, 0xbf7ba420, v8, -v62
	v_mul_f32_e32 v65, 0xbf763a35, v33
	v_add_f32_e32 v61, v9, v61
	v_fmamk_f32 v67, v13, 0xbe8c1d8e, v64
	v_mul_f32_e32 v68, 0xbeb8f4ab, v16
	v_add_f32_e32 v62, v62, v63
	v_fma_f32 v71, 0x3f3d2fb0, v20, -v71
	v_fmamk_f32 v63, v30, 0xbe8c1d8e, v65
	v_add_f32_e32 v61, v67, v61
	v_fmamk_f32 v67, v12, 0x3f6eb680, v68
	v_mul_f32_e32 v70, 0xbf06c442, v14
	v_add_f32_e32 v62, v71, v62
	v_fma_f32 v65, 0xbe8c1d8e, v30, -v65
	v_fma_f32 v66, 0xbf1a4643, v17, -v66
	;; [unrolled: 1-line block ×3, first 2 shown]
	v_add_f32_e32 v59, v63, v59
	v_add_f32_e32 v61, v67, v61
	v_fmamk_f32 v63, v11, 0xbf59a7d5, v70
	v_mul_f32_e32 v67, 0x3f7ee86f, v15
	v_add_f32_e32 v62, v65, v62
	v_add_f32_e32 v65, v9, v66
	v_fma_f32 v64, 0xbe8c1d8e, v13, -v64
	v_mul_f32_e32 v66, 0xbf763a35, v19
	v_add_f32_e32 v60, v69, v60
	v_add_f32_e32 v61, v63, v61
	v_fmamk_f32 v63, v10, 0x3dbcf732, v67
	v_mul_f32_e32 v69, 0xbf2c7751, v21
	v_add_f32_e32 v64, v64, v65
	v_fmamk_f32 v65, v17, 0xbe8c1d8e, v66
	v_mul_f32_e32 v72, 0x3f06c442, v18
	;; [unrolled: 3-line block ×3, first 2 shown]
	v_fma_f32 v68, 0x3f6eb680, v12, -v68
	v_add_f32_e32 v65, v9, v65
	v_fmamk_f32 v73, v13, 0xbf59a7d5, v72
	v_mul_f32_e32 v74, 0x3f2c7751, v16
	v_add_f32_e32 v61, v63, v61
	v_fmamk_f32 v63, v20, 0xbf7ba420, v71
	v_add_f32_e32 v64, v68, v64
	v_fma_f32 v68, 0xbf59a7d5, v11, -v70
	v_add_f32_e32 v65, v73, v65
	v_fmamk_f32 v73, v12, 0x3f3d2fb0, v74
	v_mul_f32_e32 v75, 0xbf65296c, v14
	v_fma_f32 v67, 0x3dbcf732, v10, -v67
	v_add_f32_e32 v64, v68, v64
	v_add_f32_e32 v61, v63, v61
	;; [unrolled: 1-line block ×3, first 2 shown]
	v_fmamk_f32 v65, v11, 0x3ee437d1, v75
	v_mul_f32_e32 v68, 0xbe3c28d5, v15
	v_mul_f32_e32 v70, 0x3f65296c, v33
	v_add_f32_e32 v64, v67, v64
	v_fma_f32 v67, 0x3f3d2fb0, v8, -v69
	v_add_f32_e32 v63, v65, v63
	v_fmamk_f32 v65, v10, 0xbf7ba420, v68
	v_mul_f32_e32 v69, 0x3f7ee86f, v21
	v_fma_f32 v66, 0xbe8c1d8e, v17, -v66
	v_fmamk_f32 v73, v30, 0x3ee437d1, v70
	v_add_f32_e32 v64, v67, v64
	v_fma_f32 v67, 0xbf7ba420, v20, -v71
	v_add_f32_e32 v63, v65, v63
	v_fmamk_f32 v65, v8, 0x3dbcf732, v69
	v_add_f32_e32 v66, v9, v66
	v_fma_f32 v71, 0xbf59a7d5, v13, -v72
	v_mul_f32_e32 v72, 0xbeb8f4ab, v29
	v_add_f32_e32 v61, v73, v61
	v_add_f32_e32 v64, v67, v64
	;; [unrolled: 1-line block ×4, first 2 shown]
	v_fma_f32 v66, 0x3f3d2fb0, v12, -v74
	v_fmamk_f32 v67, v20, 0x3f6eb680, v72
	v_mul_f32_e32 v73, 0xbf7ee86f, v19
	v_fma_f32 v70, 0x3ee437d1, v30, -v70
	v_mul_f32_e32 v74, 0xbe3c28d5, v18
	v_add_f32_e32 v65, v66, v65
	v_fma_f32 v66, 0x3ee437d1, v11, -v75
	v_add_f32_e32 v63, v67, v63
	v_fmamk_f32 v67, v17, 0x3dbcf732, v73
	v_add_f32_e32 v64, v70, v64
	v_fma_f32 v70, 0x3dbcf732, v17, -v73
	v_add_f32_e32 v65, v66, v65
	v_fma_f32 v66, 0xbf7ba420, v10, -v68
	v_add_f32_e32 v67, v9, v67
	v_fmamk_f32 v68, v13, 0xbf7ba420, v74
	v_mul_f32_e32 v76, 0x3f763a35, v16
	v_add_f32_e32 v70, v9, v70
	v_fma_f32 v73, 0xbf7ba420, v13, -v74
	v_add_f32_e32 v65, v66, v65
	v_fma_f32 v66, 0x3dbcf732, v8, -v69
	v_add_f32_e32 v67, v68, v67
	v_fmamk_f32 v68, v12, 0xbe8c1d8e, v76
	v_mul_f32_e32 v69, 0x3eb8f4ab, v14
	v_add_f32_e32 v70, v73, v70
	v_fma_f32 v73, 0xbe8c1d8e, v12, -v76
	v_mul_f32_e32 v71, 0xbf4c4adb, v33
	v_add_f32_e32 v65, v66, v65
	v_add_f32_e32 v66, v68, v67
	v_fmamk_f32 v67, v11, 0x3f6eb680, v69
	v_mul_f32_e32 v68, 0xbf65296c, v15
	v_fma_f32 v72, 0x3f6eb680, v20, -v72
	v_add_f32_e32 v70, v73, v70
	v_fma_f32 v69, 0x3f6eb680, v11, -v69
	v_mul_f32_e32 v73, 0xbf65296c, v19
	v_fmamk_f32 v75, v30, 0xbf1a4643, v71
	v_add_f32_e32 v66, v67, v66
	v_fmamk_f32 v67, v10, 0x3ee437d1, v68
	v_mul_f32_e32 v74, 0xbf06c442, v21
	v_add_f32_e32 v65, v72, v65
	v_fma_f32 v71, 0xbf1a4643, v30, -v71
	v_add_f32_e32 v69, v69, v70
	v_fmamk_f32 v70, v17, 0x3ee437d1, v73
	v_mul_f32_e32 v76, 0xbf4c4adb, v18
	v_fma_f32 v73, 0x3ee437d1, v17, -v73
	v_add_f32_e32 v66, v67, v66
	v_fmamk_f32 v67, v8, 0xbf59a7d5, v74
	v_mul_f32_e32 v72, 0x3f4c4adb, v29
	v_add_f32_e32 v65, v71, v65
	v_add_f32_e32 v70, v9, v70
	v_fmamk_f32 v71, v13, 0xbf1a4643, v76
	v_mul_f32_e32 v77, 0x3e3c28d5, v16
	v_add_f32_e32 v73, v9, v73
	v_fma_f32 v76, 0xbf1a4643, v13, -v76
	v_add_f32_e32 v63, v75, v63
	v_add_f32_e32 v66, v67, v66
	v_fmamk_f32 v67, v20, 0xbf1a4643, v72
	v_mul_f32_e32 v75, 0x3f2c7751, v33
	v_fma_f32 v68, 0x3ee437d1, v10, -v68
	v_add_f32_e32 v70, v71, v70
	v_fmamk_f32 v71, v12, 0xbf7ba420, v77
	v_add_f32_e32 v73, v76, v73
	v_mul_f32_e32 v76, 0x3f763a35, v14
	v_add_f32_e32 v66, v67, v66
	v_fmamk_f32 v67, v30, 0x3f3d2fb0, v75
	v_add_f32_e32 v68, v68, v69
	v_fma_f32 v69, 0xbf59a7d5, v8, -v74
	v_add_f32_e32 v70, v71, v70
	v_fmamk_f32 v71, v11, 0xbe8c1d8e, v76
	v_mul_f32_e32 v74, 0x3f2c7751, v15
	v_fma_f32 v77, 0xbf7ba420, v12, -v77
	v_add_f32_e32 v66, v67, v66
	v_add_f32_e32 v67, v69, v68
	v_add_f32_e32 v68, v71, v70
	v_fmamk_f32 v69, v10, 0x3f3d2fb0, v74
	v_add_f32_e32 v73, v77, v73
	v_fma_f32 v76, 0xbe8c1d8e, v11, -v76
	v_mul_f32_e32 v71, 0xbeb8f4ab, v21
	v_fma_f32 v72, 0xbf1a4643, v20, -v72
	v_add_f32_e32 v68, v69, v68
	v_mul_f32_e32 v69, 0xbf2c7751, v19
	v_add_f32_e32 v70, v76, v73
	v_fma_f32 v73, 0x3f3d2fb0, v10, -v74
	v_fmamk_f32 v74, v8, 0x3f6eb680, v71
	v_mul_f32_e32 v77, 0xbf7ee86f, v18
	v_fmamk_f32 v76, v17, 0x3f3d2fb0, v69
	v_fma_f32 v71, 0x3f6eb680, v8, -v71
	v_add_f32_e32 v70, v73, v70
	v_mul_f32_e32 v73, 0xbf7ee86f, v29
	v_add_f32_e32 v67, v72, v67
	v_fma_f32 v72, 0x3f3d2fb0, v30, -v75
	v_add_f32_e32 v68, v74, v68
	v_add_f32_e32 v74, v9, v76
	v_fmamk_f32 v75, v13, 0x3dbcf732, v77
	v_mul_f32_e32 v76, 0xbf4c4adb, v16
	v_fmamk_f32 v78, v20, 0x3dbcf732, v73
	v_add_f32_e32 v70, v71, v70
	v_fma_f32 v71, 0x3dbcf732, v20, -v73
	v_add_f32_e32 v73, v75, v74
	v_fmamk_f32 v74, v12, 0xbf1a4643, v76
	v_mul_f32_e32 v75, 0xbe3c28d5, v14
	v_mul_f32_e32 v79, 0xbf06c442, v33
	v_add_f32_e32 v67, v72, v67
	v_add_f32_e32 v68, v78, v68
	;; [unrolled: 1-line block ×3, first 2 shown]
	v_fmamk_f32 v73, v11, 0xbf7ba420, v75
	v_mul_f32_e32 v74, 0x3f06c442, v15
	v_add_f32_e32 v70, v71, v70
	v_fma_f32 v71, 0xbf59a7d5, v30, -v79
	v_fma_f32 v69, 0x3f3d2fb0, v17, -v69
	v_add_f32_e32 v72, v73, v72
	v_fmamk_f32 v73, v10, 0xbf59a7d5, v74
	v_mul_f32_e32 v78, 0x3f763a35, v21
	v_add_f32_e32 v70, v71, v70
	v_add_f32_e32 v69, v9, v69
	v_fma_f32 v71, 0x3dbcf732, v13, -v77
	v_add_f32_e32 v72, v73, v72
	v_fmamk_f32 v73, v8, 0xbe8c1d8e, v78
	v_mul_f32_e32 v77, 0x3f65296c, v29
	v_add_f32_e32 v80, v9, v58
	v_add_f32_e32 v69, v71, v69
	v_fma_f32 v71, 0xbf1a4643, v12, -v76
	v_add_f32_e32 v72, v73, v72
	v_fmamk_f32 v73, v20, 0x3ee437d1, v77
	v_add_f32_e32 v76, v80, v57
	v_mul_f32_e32 v19, 0xbeb8f4ab, v19
	v_add_f32_e32 v69, v71, v69
	v_fma_f32 v71, 0xbf7ba420, v11, -v75
	v_add_f32_e32 v72, v73, v72
	v_add_f32_e32 v73, v76, v51
	v_fmamk_f32 v75, v17, 0x3f6eb680, v19
	v_fma_f32 v17, 0x3f6eb680, v17, -v19
	v_add_f32_e32 v19, v71, v69
	v_mul_f32_e32 v18, 0xbf2c7751, v18
	v_add_f32_e32 v69, v73, v48
	v_add_f32_e32 v73, v9, v75
	;; [unrolled: 1-line block ×3, first 2 shown]
	v_mul_f32_e32 v16, 0xbf65296c, v16
	v_fmamk_f32 v17, v13, 0x3f3d2fb0, v18
	v_add_f32_e32 v69, v69, v46
	v_fma_f32 v13, 0x3f3d2fb0, v13, -v18
	v_fma_f32 v71, 0xbf59a7d5, v10, -v74
	v_mul_f32_e32 v14, 0xbf7ee86f, v14
	v_add_f32_e32 v17, v17, v73
	v_add_f32_e32 v18, v69, v43
	;; [unrolled: 1-line block ×3, first 2 shown]
	v_fmamk_f32 v13, v12, 0x3ee437d1, v16
	v_fma_f32 v12, 0x3ee437d1, v12, -v16
	v_add_f32_e32 v19, v71, v19
	v_add_f32_e32 v16, v18, v31
	v_fma_f32 v69, 0xbe8c1d8e, v8, -v78
	v_add_f32_e32 v13, v13, v17
	v_add_f32_e32 v9, v12, v9
	v_fmamk_f32 v17, v11, 0x3dbcf732, v14
	v_add_f32_e32 v12, v16, v22
	v_add_f32_e32 v18, v69, v19
	v_fma_f32 v16, 0x3ee437d1, v20, -v77
	v_fma_f32 v11, 0x3dbcf732, v11, -v14
	v_mul_f32_e32 v14, 0xbf763a35, v15
	v_add_f32_e32 v12, v12, v24
	v_add_f32_e32 v13, v17, v13
	;; [unrolled: 1-line block ×4, first 2 shown]
	v_fmamk_f32 v11, v10, 0xbe8c1d8e, v14
	v_add_f32_e32 v12, v12, v27
	v_fma_f32 v10, 0xbe8c1d8e, v10, -v14
	v_mul_f32_e32 v16, 0xbf4c4adb, v21
	v_mul_f32_e32 v17, 0xbf06c442, v29
	v_add_f32_e32 v11, v11, v13
	v_add_f32_e32 v12, v12, v32
	v_add_f32_e32 v9, v10, v9
	v_fmamk_f32 v10, v8, 0xbf1a4643, v16
	v_fma_f32 v8, 0xbf1a4643, v8, -v16
	v_mov_b32_e32 v18, 0xcc
	v_add_f32_e32 v12, v12, v36
	v_mov_b32_e32 v19, 2
	v_add_f32_e32 v10, v10, v11
	v_add_f32_e32 v8, v8, v9
	v_fma_f32 v9, 0xbf59a7d5, v20, -v17
	v_add_f32_e32 v11, v12, v37
	v_fmamk_f32 v12, v20, 0xbf59a7d5, v17
	v_mul_f32_e32 v17, 0xbe3c28d5, v33
	v_mul_f32_e32 v13, 0x3eb8f4ab, v33
	v_add_f32_e32 v8, v9, v8
	v_add_f32_e32 v11, v11, v39
	v_mul_u32_u24_sdwa v18, v4, v18 dst_sel:DWORD dst_unused:UNUSED_PAD src0_sel:WORD_0 src1_sel:DWORD
	v_fma_f32 v9, 0xbf7ba420, v30, -v17
	v_lshlrev_b32_sdwa v19, v19, v23 dst_sel:DWORD dst_unused:UNUSED_PAD src0_sel:DWORD src1_sel:BYTE_0
	v_fmamk_f32 v16, v30, 0x3f6eb680, v13
	v_add_f32_e32 v11, v11, v34
	v_fma_f32 v13, 0x3f6eb680, v30, -v13
	v_fmamk_f32 v14, v30, 0xbf59a7d5, v79
	v_add_f32_e32 v10, v12, v10
	v_fmamk_f32 v12, v30, 0xbf7ba420, v17
	v_add_f32_e32 v8, v9, v8
	v_add_f32_e32 v9, v11, v40
	v_add3_u32 v11, 0, v18, v19
	v_add_f32_e32 v13, v13, v15
	v_add_f32_e32 v14, v14, v68
	;; [unrolled: 1-line block ×4, first 2 shown]
	ds_write2_b32 v11, v9, v8 offset1:3
	ds_write2_b32 v11, v13, v70 offset0:6 offset1:9
	ds_write2_b32 v11, v67, v65 offset0:12 offset1:15
	ds_write2_b32 v11, v64, v62 offset0:18 offset1:21
	ds_write2_b32 v11, v60, v42 offset0:24 offset1:27
	ds_write2_b32 v11, v59, v61 offset0:30 offset1:33
	ds_write2_b32 v11, v63, v66 offset0:36 offset1:39
	ds_write2_b32 v11, v14, v15 offset0:42 offset1:45
	ds_write_b32 v11, v10 offset:192
.LBB0_25:
	s_or_b32 exec_lo, exec_lo, s1
	v_add_nc_u32_e32 v29, 0x400, v0
	v_add_nc_u32_e32 v30, 0x600, v0
	v_add_nc_u32_e32 v33, 0x800, v0
	s_waitcnt lgkmcnt(0)
	s_barrier
	buffer_gl0_inv
	ds_read2_b32 v[8:9], v0 offset1:51
	ds_read2_b32 v[10:11], v0 offset0:102 offset1:153
	ds_read2_b32 v[20:21], v0 offset0:204 offset1:255
	;; [unrolled: 1-line block ×6, first 2 shown]
	s_waitcnt lgkmcnt(0)
	s_barrier
	buffer_gl0_inv
	s_and_saveexec_b32 s1, s0
	s_cbranch_execz .LBB0_27
; %bb.26:
	v_add_f32_e32 v42, v7, v56
	v_sub_f32_e32 v40, v58, v40
	v_add_f32_e32 v56, v56, v54
	v_add_f32_e32 v58, v55, v53
	v_sub_f32_e32 v34, v57, v34
	v_add_f32_e32 v42, v42, v55
	v_mul_f32_e32 v55, 0xbeb8f4ab, v40
	v_mul_f32_e32 v57, 0xbf2c7751, v40
	;; [unrolled: 1-line block ×4, first 2 shown]
	v_add_f32_e32 v42, v42, v50
	v_mul_f32_e32 v61, 0xbf763a35, v40
	v_mul_f32_e32 v62, 0xbf4c4adb, v40
	;; [unrolled: 1-line block ×4, first 2 shown]
	v_add_f32_e32 v42, v42, v47
	v_mul_f32_e32 v64, 0xbf2c7751, v34
	v_mul_f32_e32 v65, 0xbf7ee86f, v34
	v_fmamk_f32 v69, v56, 0x3f6eb680, v55
	v_fma_f32 v55, 0x3f6eb680, v56, -v55
	v_add_f32_e32 v42, v42, v44
	v_fmamk_f32 v70, v56, 0x3f3d2fb0, v57
	v_fma_f32 v57, 0x3f3d2fb0, v56, -v57
	v_mul_f32_e32 v67, 0xbe3c28d5, v34
	v_mul_f32_e32 v68, 0x3f06c442, v34
	v_add_f32_e32 v42, v42, v38
	v_fmamk_f32 v71, v56, 0x3ee437d1, v59
	v_fma_f32 v59, 0x3ee437d1, v56, -v59
	v_fmamk_f32 v72, v56, 0x3dbcf732, v60
	v_fma_f32 v60, 0x3dbcf732, v56, -v60
	v_add_f32_e32 v42, v42, v28
	v_fmamk_f32 v73, v56, 0xbe8c1d8e, v61
	v_fma_f32 v61, 0xbe8c1d8e, v56, -v61
	v_fmamk_f32 v74, v56, 0xbf1a4643, v62
	v_fma_f32 v62, 0xbf1a4643, v56, -v62
	;; [unrolled: 5-line block ×4, first 2 shown]
	v_add_f32_e32 v42, v42, v35
	v_add_f32_e32 v69, v7, v69
	;; [unrolled: 1-line block ×23, first 2 shown]
	v_mul_f32_e32 v65, 0x3f763a35, v34
	v_mul_f32_e32 v66, 0xbf4c4adb, v34
	v_add_f32_e32 v42, v42, v53
	v_add_f32_e32 v53, v64, v55
	v_fma_f32 v64, 0xbf7ba420, v58, -v67
	v_sub_f32_e32 v39, v51, v39
	v_fmamk_f32 v78, v58, 0xbf1a4643, v66
	v_add_f32_e32 v42, v42, v54
	v_fmamk_f32 v54, v58, 0xbf7ba420, v67
	v_fma_f32 v67, 0xbf59a7d5, v58, -v68
	v_add_f32_e32 v60, v64, v60
	v_fmamk_f32 v64, v58, 0xbe8c1d8e, v65
	v_fma_f32 v65, 0xbe8c1d8e, v58, -v65
	v_fma_f32 v66, 0xbf1a4643, v58, -v66
	v_add_f32_e32 v61, v67, v61
	v_mul_f32_e32 v67, 0x3f65296c, v34
	v_mul_f32_e32 v34, 0x3eb8f4ab, v34
	v_add_f32_e32 v62, v65, v62
	v_add_f32_e32 v50, v50, v52
	v_mul_f32_e32 v52, 0xbf65296c, v39
	v_fmamk_f32 v51, v58, 0x3ee437d1, v67
	v_fma_f32 v65, 0x3ee437d1, v58, -v67
	v_fmamk_f32 v67, v58, 0x3f6eb680, v34
	v_fma_f32 v34, 0x3f6eb680, v58, -v34
	v_add_f32_e32 v59, v66, v59
	v_fmamk_f32 v66, v58, 0xbf59a7d5, v68
	v_add_f32_e32 v58, v65, v63
	v_add_f32_e32 v63, v67, v76
	v_fmamk_f32 v65, v50, 0x3ee437d1, v52
	v_mul_f32_e32 v67, 0xbf4c4adb, v39
	v_add_f32_e32 v7, v34, v7
	v_fma_f32 v34, 0x3ee437d1, v50, -v52
	v_mul_f32_e32 v52, 0x3e3c28d5, v39
	v_add_f32_e32 v40, v65, v40
	v_fmamk_f32 v65, v50, 0xbf1a4643, v67
	v_fma_f32 v67, 0xbf1a4643, v50, -v67
	v_add_f32_e32 v34, v34, v53
	v_fmamk_f32 v53, v50, 0xbf7ba420, v52
	v_mul_f32_e32 v68, 0x3f763a35, v39
	v_fma_f32 v52, 0xbf7ba420, v50, -v52
	v_add_f32_e32 v55, v77, v70
	v_add_f32_e32 v57, v78, v71
	;; [unrolled: 1-line block ×3, first 2 shown]
	v_fma_f32 v67, 0xbe8c1d8e, v50, -v68
	v_add_f32_e32 v52, v52, v59
	v_mul_f32_e32 v59, 0xbeb8f4ab, v39
	v_add_f32_e32 v54, v54, v72
	v_add_f32_e32 v55, v65, v55
	;; [unrolled: 1-line block ×3, first 2 shown]
	v_fmamk_f32 v57, v50, 0xbe8c1d8e, v68
	v_mul_f32_e32 v65, 0x3f2c7751, v39
	v_add_f32_e32 v60, v67, v60
	v_fmamk_f32 v67, v50, 0x3f6eb680, v59
	v_mul_f32_e32 v68, 0xbf7ee86f, v39
	v_fma_f32 v59, 0x3f6eb680, v50, -v59
	v_mul_f32_e32 v39, 0xbf06c442, v39
	v_sub_f32_e32 v37, v48, v37
	v_add_f32_e32 v54, v57, v54
	v_fmamk_f32 v57, v50, 0x3f3d2fb0, v65
	v_fma_f32 v65, 0x3f3d2fb0, v50, -v65
	v_add_f32_e32 v59, v59, v62
	v_fma_f32 v48, 0x3dbcf732, v50, -v68
	v_fmamk_f32 v62, v50, 0xbf59a7d5, v39
	v_add_f32_e32 v47, v47, v49
	v_mul_f32_e32 v49, 0xbf7ee86f, v37
	v_add_f32_e32 v61, v65, v61
	v_fmamk_f32 v65, v50, 0x3dbcf732, v68
	v_add_f32_e32 v48, v48, v58
	v_fma_f32 v39, 0xbf59a7d5, v50, -v39
	v_add_f32_e32 v50, v62, v63
	v_mul_f32_e32 v58, 0xbe3c28d5, v37
	v_fmamk_f32 v62, v47, 0x3dbcf732, v49
	v_fma_f32 v49, 0x3dbcf732, v47, -v49
	v_add_f32_e32 v7, v39, v7
	v_mul_f32_e32 v39, 0x3f763a35, v37
	v_fmamk_f32 v63, v47, 0xbf7ba420, v58
	v_add_f32_e32 v40, v62, v40
	v_add_f32_e32 v34, v49, v34
	v_fma_f32 v49, 0xbf7ba420, v47, -v58
	v_fmamk_f32 v58, v47, 0xbe8c1d8e, v39
	v_mul_f32_e32 v62, 0x3eb8f4ab, v37
	v_fma_f32 v39, 0xbe8c1d8e, v47, -v39
	v_add_f32_e32 v55, v63, v55
	v_add_f32_e32 v49, v49, v56
	v_mul_f32_e32 v56, 0xbf65296c, v37
	v_add_f32_e32 v53, v58, v53
	v_fmamk_f32 v58, v47, 0x3f6eb680, v62
	v_add_f32_e32 v39, v39, v52
	v_fma_f32 v52, 0x3f6eb680, v47, -v62
	v_mul_f32_e32 v62, 0xbf06c442, v37
	v_fmamk_f32 v63, v47, 0x3ee437d1, v56
	v_fma_f32 v56, 0x3ee437d1, v47, -v56
	v_add_f32_e32 v51, v51, v75
	v_add_f32_e32 v52, v52, v60
	v_fma_f32 v60, 0xbf59a7d5, v47, -v62
	v_sub_f32_e32 v36, v46, v36
	v_add_f32_e32 v56, v56, v61
	v_mul_f32_e32 v61, 0x3f4c4adb, v37
	v_mul_f32_e32 v37, 0x3f2c7751, v37
	v_add_f32_e32 v51, v65, v51
	v_add_f32_e32 v59, v60, v59
	;; [unrolled: 1-line block ×3, first 2 shown]
	v_fmamk_f32 v46, v47, 0xbf1a4643, v61
	v_fma_f32 v60, 0xbf1a4643, v47, -v61
	v_fmamk_f32 v61, v47, 0x3f3d2fb0, v37
	v_mul_f32_e32 v45, 0xbf763a35, v36
	v_fma_f32 v37, 0x3f3d2fb0, v47, -v37
	v_add_f32_e32 v54, v58, v54
	v_fmamk_f32 v58, v47, 0xbf59a7d5, v62
	v_add_f32_e32 v46, v46, v51
	v_add_f32_e32 v47, v60, v48
	;; [unrolled: 1-line block ×3, first 2 shown]
	v_fmamk_f32 v50, v44, 0xbe8c1d8e, v45
	v_mul_f32_e32 v51, 0x3f06c442, v36
	v_add_f32_e32 v7, v37, v7
	v_fma_f32 v37, 0xbe8c1d8e, v44, -v45
	v_mul_f32_e32 v45, 0x3f2c7751, v36
	v_add_f32_e32 v40, v50, v40
	v_fmamk_f32 v50, v44, 0xbf59a7d5, v51
	v_fma_f32 v51, 0xbf59a7d5, v44, -v51
	v_add_f32_e32 v34, v37, v34
	v_fmamk_f32 v37, v44, 0x3f3d2fb0, v45
	v_mul_f32_e32 v60, 0xbf65296c, v36
	v_add_f32_e32 v50, v50, v55
	v_add_f32_e32 v49, v51, v49
	v_fma_f32 v45, 0x3f3d2fb0, v44, -v45
	v_add_f32_e32 v37, v37, v53
	v_fmamk_f32 v51, v44, 0x3ee437d1, v60
	v_mul_f32_e32 v53, 0xbe3c28d5, v36
	v_fma_f32 v55, 0x3ee437d1, v44, -v60
	v_mul_f32_e32 v60, 0xbeb8f4ab, v36
	v_add_f32_e32 v39, v45, v39
	v_add_f32_e32 v51, v51, v54
	v_fmamk_f32 v54, v44, 0xbf7ba420, v53
	v_fma_f32 v53, 0xbf7ba420, v44, -v53
	v_mul_f32_e32 v45, 0x3f7ee86f, v36
	v_mul_f32_e32 v36, 0xbf4c4adb, v36
	v_sub_f32_e32 v32, v43, v32
	v_fma_f32 v43, 0x3f6eb680, v44, -v60
	v_add_f32_e32 v53, v53, v56
	v_fmamk_f32 v56, v44, 0x3f6eb680, v60
	v_add_f32_e32 v38, v38, v41
	v_mul_f32_e32 v41, 0xbf4c4adb, v32
	v_add_f32_e32 v52, v55, v52
	v_fmamk_f32 v55, v44, 0x3dbcf732, v45
	v_add_f32_e32 v46, v56, v46
	v_fmamk_f32 v56, v44, 0xbf1a4643, v36
	v_fma_f32 v36, 0xbf1a4643, v44, -v36
	v_fma_f32 v45, 0x3dbcf732, v44, -v45
	v_add_f32_e32 v43, v43, v47
	v_mul_f32_e32 v47, 0x3f763a35, v32
	v_add_f32_e32 v44, v56, v48
	v_fmamk_f32 v48, v38, 0xbf1a4643, v41
	v_fma_f32 v41, 0xbf1a4643, v38, -v41
	v_add_f32_e32 v7, v36, v7
	v_mul_f32_e32 v36, 0xbeb8f4ab, v32
	v_fmamk_f32 v56, v38, 0xbe8c1d8e, v47
	v_add_f32_e32 v40, v48, v40
	v_add_f32_e32 v34, v41, v34
	v_fma_f32 v41, 0xbe8c1d8e, v38, -v47
	v_fmamk_f32 v47, v38, 0x3f6eb680, v36
	v_add_f32_e32 v48, v56, v50
	v_mul_f32_e32 v50, 0xbf06c442, v32
	v_fma_f32 v36, 0x3f6eb680, v38, -v36
	v_add_f32_e32 v41, v41, v49
	v_add_f32_e32 v37, v47, v37
	v_mul_f32_e32 v47, 0x3f7ee86f, v32
	v_fmamk_f32 v49, v38, 0xbf59a7d5, v50
	v_add_f32_e32 v36, v36, v39
	v_fma_f32 v39, 0xbf59a7d5, v38, -v50
	v_mul_f32_e32 v50, 0xbf2c7751, v32
	v_fmamk_f32 v56, v38, 0x3dbcf732, v47
	v_fma_f32 v47, 0x3dbcf732, v38, -v47
	v_add_f32_e32 v45, v45, v59
	v_add_f32_e32 v49, v49, v51
	v_fmamk_f32 v51, v38, 0x3f3d2fb0, v50
	v_fma_f32 v50, 0x3f3d2fb0, v38, -v50
	v_add_f32_e32 v47, v47, v53
	v_mul_f32_e32 v53, 0xbe3c28d5, v32
	v_mul_f32_e32 v32, 0x3f65296c, v32
	v_sub_f32_e32 v27, v31, v27
	v_add_f32_e32 v45, v50, v45
	v_add_f32_e32 v28, v28, v35
	v_fmamk_f32 v31, v38, 0xbf7ba420, v53
	v_fma_f32 v50, 0xbf7ba420, v38, -v53
	v_fmamk_f32 v53, v38, 0x3ee437d1, v32
	v_mul_f32_e32 v35, 0xbf06c442, v27
	v_fma_f32 v32, 0x3ee437d1, v38, -v32
	v_add_f32_e32 v64, v64, v74
	v_add_f32_e32 v31, v31, v46
	;; [unrolled: 1-line block ×4, first 2 shown]
	v_fmamk_f32 v44, v28, 0xbf59a7d5, v35
	v_mul_f32_e32 v46, 0x3f65296c, v27
	v_add_f32_e32 v7, v32, v7
	v_fma_f32 v32, 0xbf59a7d5, v28, -v35
	v_mul_f32_e32 v35, 0xbf7ee86f, v27
	v_add_f32_e32 v64, v67, v64
	v_add_f32_e32 v40, v44, v40
	v_fmamk_f32 v44, v28, 0x3ee437d1, v46
	v_add_f32_e32 v32, v32, v34
	v_fmamk_f32 v34, v28, 0x3dbcf732, v35
	v_mul_f32_e32 v50, 0x3f4c4adb, v27
	v_fma_f32 v35, 0x3dbcf732, v28, -v35
	v_add_f32_e32 v58, v58, v64
	v_add_f32_e32 v39, v39, v52
	v_fma_f32 v46, 0x3ee437d1, v28, -v46
	v_add_f32_e32 v44, v44, v48
	v_fma_f32 v48, 0xbf1a4643, v28, -v50
	v_add_f32_e32 v35, v35, v36
	v_mul_f32_e32 v36, 0xbe3c28d5, v27
	v_add_f32_e32 v34, v34, v37
	v_fmamk_f32 v37, v28, 0xbf1a4643, v50
	v_mul_f32_e32 v50, 0x3f2c7751, v27
	v_add_f32_e32 v66, v66, v73
	v_add_f32_e32 v55, v55, v58
	;; [unrolled: 1-line block ×3, first 2 shown]
	v_mul_f32_e32 v46, 0xbeb8f4ab, v27
	v_add_f32_e32 v39, v48, v39
	v_fmamk_f32 v48, v28, 0xbf7ba420, v36
	v_fma_f32 v36, 0xbf7ba420, v28, -v36
	v_mul_f32_e32 v27, 0xbf763a35, v27
	v_sub_f32_e32 v22, v22, v24
	v_fma_f32 v24, 0x3f3d2fb0, v28, -v50
	v_add_f32_e32 v57, v57, v66
	v_add_f32_e32 v51, v51, v55
	;; [unrolled: 1-line block ×3, first 2 shown]
	v_fmamk_f32 v49, v28, 0x3f6eb680, v46
	v_fma_f32 v46, 0x3f6eb680, v28, -v46
	v_add_f32_e32 v36, v36, v45
	v_fmamk_f32 v45, v28, 0xbe8c1d8e, v27
	v_add_f32_e32 v25, v25, v26
	v_mul_f32_e32 v26, 0xbe3c28d5, v22
	v_fma_f32 v27, 0xbe8c1d8e, v28, -v27
	v_add_f32_e32 v24, v24, v38
	v_mul_f32_e32 v38, 0x3eb8f4ab, v22
	v_add_f32_e32 v57, v63, v57
	v_add_f32_e32 v46, v46, v47
	;; [unrolled: 1-line block ×3, first 2 shown]
	v_fmamk_f32 v48, v28, 0x3f3d2fb0, v50
	v_add_f32_e32 v28, v45, v43
	v_fmamk_f32 v43, v25, 0xbf7ba420, v26
	v_fma_f32 v26, 0xbf7ba420, v25, -v26
	v_add_f32_e32 v7, v27, v7
	v_mul_f32_e32 v27, 0xbf06c442, v22
	v_fmamk_f32 v45, v25, 0x3f6eb680, v38
	v_add_f32_e32 v54, v54, v57
	v_add_f32_e32 v26, v26, v32
	v_fma_f32 v32, 0x3f6eb680, v25, -v38
	v_fmamk_f32 v38, v25, 0xbf59a7d5, v27
	v_add_f32_e32 v40, v43, v40
	v_add_f32_e32 v43, v45, v44
	v_fma_f32 v27, 0xbf59a7d5, v25, -v27
	v_mul_f32_e32 v44, 0x3f2c7751, v22
	v_add_f32_e32 v52, v56, v54
	v_add_f32_e32 v34, v38, v34
	v_mul_f32_e32 v38, 0xbf4c4adb, v22
	v_add_f32_e32 v32, v32, v41
	v_add_f32_e32 v27, v27, v35
	v_fmamk_f32 v35, v25, 0x3f3d2fb0, v44
	v_mul_f32_e32 v41, 0x3f65296c, v22
	v_add_f32_e32 v49, v49, v52
	v_fma_f32 v44, 0x3f3d2fb0, v25, -v44
	v_fmamk_f32 v45, v25, 0xbf1a4643, v38
	v_fma_f32 v38, 0xbf1a4643, v25, -v38
	v_add_f32_e32 v35, v35, v37
	v_fmamk_f32 v37, v25, 0x3ee437d1, v41
	v_add_f32_e32 v39, v44, v39
	v_add_f32_e32 v44, v45, v49
	;; [unrolled: 1-line block ×3, first 2 shown]
	v_mov_b32_e32 v45, 0xcc
	v_mov_b32_e32 v46, 2
	v_fma_f32 v41, 0x3ee437d1, v25, -v41
	v_add_f32_e32 v37, v37, v47
	v_mul_f32_e32 v47, 0xbf763a35, v22
	v_mul_f32_e32 v22, 0x3f7ee86f, v22
	v_mul_u32_u24_sdwa v4, v4, v45 dst_sel:DWORD dst_unused:UNUSED_PAD src0_sel:WORD_0 src1_sel:DWORD
	v_lshlrev_b32_sdwa v23, v46, v23 dst_sel:DWORD dst_unused:UNUSED_PAD src0_sel:DWORD src1_sel:BYTE_0
	v_add_f32_e32 v31, v48, v31
	v_add_f32_e32 v36, v41, v36
	v_fmamk_f32 v41, v25, 0xbe8c1d8e, v47
	v_fmamk_f32 v46, v25, 0x3dbcf732, v22
	v_fma_f32 v22, 0x3dbcf732, v25, -v22
	v_fma_f32 v45, 0xbe8c1d8e, v25, -v47
	v_add3_u32 v4, 0, v4, v23
	v_add_f32_e32 v23, v41, v31
	v_add_f32_e32 v25, v46, v28
	;; [unrolled: 1-line block ×4, first 2 shown]
	ds_write2_b32 v4, v42, v40 offset1:3
	ds_write2_b32 v4, v43, v34 offset0:6 offset1:9
	ds_write2_b32 v4, v35, v44 offset0:12 offset1:15
	;; [unrolled: 1-line block ×7, first 2 shown]
	ds_write_b32 v4, v26 offset:192
.LBB0_27:
	s_or_b32 exec_lo, exec_lo, s1
	v_mul_u32_u24_e32 v4, 6, v3
	s_waitcnt lgkmcnt(0)
	s_barrier
	buffer_gl0_inv
	v_lshlrev_b32_e32 v4, 3, v4
	s_clause 0x2
	global_load_dwordx4 v[22:25], v4, s[12:13] offset:384
	global_load_dwordx4 v[34:37], v4, s[12:13] offset:400
	;; [unrolled: 1-line block ×3, first 2 shown]
	ds_read2_b32 v[26:27], v0 offset0:102 offset1:153
	ds_read2_b32 v[31:32], v0 offset0:204 offset1:255
	;; [unrolled: 1-line block ×6, first 2 shown]
	ds_read2_b32 v[50:51], v0 offset1:51
	s_waitcnt vmcnt(0) lgkmcnt(0)
	s_barrier
	buffer_gl0_inv
	v_mul_f32_e32 v4, v26, v23
	v_mul_f32_e32 v28, v31, v25
	;; [unrolled: 1-line block ×24, first 2 shown]
	v_fma_f32 v4, v10, v22, -v4
	v_fma_f32 v10, v20, v24, -v28
	;; [unrolled: 1-line block ×4, first 2 shown]
	v_fmac_f32_e32 v7, v26, v22
	v_fmac_f32_e32 v52, v31, v24
	;; [unrolled: 1-line block ×4, first 2 shown]
	v_fma_f32 v18, v18, v34, -v53
	v_fma_f32 v16, v16, v36, -v55
	;; [unrolled: 1-line block ×3, first 2 shown]
	v_fmac_f32_e32 v23, v27, v22
	v_fma_f32 v20, v21, v24, -v62
	v_fma_f32 v15, v15, v38, -v65
	;; [unrolled: 1-line block ×3, first 2 shown]
	v_fmac_f32_e32 v41, v49, v40
	v_fmac_f32_e32 v54, v42, v34
	;; [unrolled: 1-line block ×4, first 2 shown]
	v_fma_f32 v19, v19, v34, -v63
	v_fmac_f32_e32 v35, v43, v34
	v_fma_f32 v17, v17, v36, -v64
	v_fmac_f32_e32 v37, v45, v36
	v_fmac_f32_e32 v39, v47, v38
	v_add_f32_e32 v21, v4, v12
	v_sub_f32_e32 v4, v4, v12
	v_add_f32_e32 v12, v10, v14
	v_add_f32_e32 v22, v7, v60
	v_add_f32_e32 v24, v52, v58
	v_sub_f32_e32 v10, v10, v14
	v_add_f32_e32 v26, v18, v16
	v_sub_f32_e32 v16, v16, v18
	v_add_f32_e32 v28, v11, v13
	v_add_f32_e32 v31, v23, v41
	v_sub_f32_e32 v11, v11, v13
	v_sub_f32_e32 v13, v23, v41
	v_add_f32_e32 v23, v20, v15
	v_sub_f32_e32 v7, v7, v60
	v_sub_f32_e32 v14, v52, v58
	v_add_f32_e32 v27, v54, v56
	v_sub_f32_e32 v18, v56, v54
	v_add_f32_e32 v32, v25, v39
	v_sub_f32_e32 v15, v20, v15
	v_sub_f32_e32 v20, v25, v39
	v_add_f32_e32 v25, v19, v17
	v_add_f32_e32 v34, v35, v37
	v_sub_f32_e32 v17, v17, v19
	v_sub_f32_e32 v19, v37, v35
	v_add_f32_e32 v35, v12, v21
	v_add_f32_e32 v36, v24, v22
	v_sub_f32_e32 v37, v12, v21
	v_sub_f32_e32 v21, v21, v26
	;; [unrolled: 1-line block ×3, first 2 shown]
	v_add_f32_e32 v39, v16, v10
	v_sub_f32_e32 v41, v16, v10
	v_sub_f32_e32 v10, v10, v4
	v_add_f32_e32 v43, v23, v28
	v_sub_f32_e32 v38, v24, v22
	v_sub_f32_e32 v22, v22, v27
	;; [unrolled: 1-line block ×3, first 2 shown]
	v_add_f32_e32 v40, v18, v14
	v_sub_f32_e32 v42, v18, v14
	v_sub_f32_e32 v14, v14, v7
	v_add_f32_e32 v44, v32, v31
	v_sub_f32_e32 v45, v23, v28
	v_sub_f32_e32 v46, v32, v31
	;; [unrolled: 1-line block ×5, first 2 shown]
	v_add_f32_e32 v47, v17, v15
	v_add_f32_e32 v48, v19, v20
	v_sub_f32_e32 v49, v17, v15
	v_sub_f32_e32 v52, v19, v20
	;; [unrolled: 1-line block ×4, first 2 shown]
	v_add_f32_e32 v26, v26, v35
	v_add_f32_e32 v27, v27, v36
	v_sub_f32_e32 v16, v4, v16
	v_add_f32_e32 v4, v39, v4
	v_mul_f32_e32 v21, 0x3f4a47b2, v21
	v_mul_f32_e32 v35, 0x3d64c772, v12
	;; [unrolled: 1-line block ×4, first 2 shown]
	v_add_f32_e32 v25, v25, v43
	v_sub_f32_e32 v18, v7, v18
	v_sub_f32_e32 v31, v31, v34
	;; [unrolled: 1-line block ×4, first 2 shown]
	v_add_f32_e32 v7, v40, v7
	v_mul_f32_e32 v22, 0x3f4a47b2, v22
	v_mul_f32_e32 v36, 0x3d64c772, v24
	;; [unrolled: 1-line block ×4, first 2 shown]
	v_add_f32_e32 v34, v34, v44
	v_add_f32_e32 v11, v47, v11
	;; [unrolled: 1-line block ×3, first 2 shown]
	v_mul_f32_e32 v28, 0x3f4a47b2, v28
	v_mul_f32_e32 v43, 0x3d64c772, v23
	;; [unrolled: 1-line block ×7, first 2 shown]
	v_add_f32_e32 v8, v8, v26
	v_add_f32_e32 v50, v50, v27
	v_fmamk_f32 v12, v12, 0x3d64c772, v21
	v_fma_f32 v35, 0x3f3bfb3b, v37, -v35
	v_fma_f32 v21, 0xbf3bfb3b, v37, -v21
	v_fmamk_f32 v37, v16, 0x3eae86e6, v39
	v_fma_f32 v10, 0x3f5ff5aa, v10, -v39
	v_fma_f32 v16, 0xbeae86e6, v16, -v41
	v_add_f32_e32 v9, v9, v25
	v_mul_f32_e32 v31, 0x3f4a47b2, v31
	v_fmamk_f32 v24, v24, 0x3d64c772, v22
	v_fma_f32 v36, 0x3f3bfb3b, v38, -v36
	v_fma_f32 v22, 0xbf3bfb3b, v38, -v22
	v_fmamk_f32 v38, v18, 0x3eae86e6, v40
	v_fma_f32 v14, 0x3f5ff5aa, v14, -v40
	v_fma_f32 v18, 0xbeae86e6, v18, -v42
	v_add_f32_e32 v39, v51, v34
	v_fmamk_f32 v23, v23, 0x3d64c772, v28
	v_fma_f32 v40, 0x3f3bfb3b, v45, -v43
	v_fma_f32 v41, 0x3f3bfb3b, v46, -v44
	;; [unrolled: 1-line block ×3, first 2 shown]
	v_fmamk_f32 v42, v17, 0x3eae86e6, v47
	v_fmamk_f32 v43, v19, 0x3eae86e6, v48
	v_fma_f32 v44, 0x3f5ff5aa, v15, -v47
	v_fma_f32 v45, 0xbeae86e6, v17, -v49
	;; [unrolled: 1-line block ×3, first 2 shown]
	v_fmamk_f32 v19, v26, 0xbf955555, v8
	v_fma_f32 v15, 0x3f5ff5aa, v20, -v48
	v_fmamk_f32 v20, v27, 0xbf955555, v50
	v_fmac_f32_e32 v37, 0x3ee1c552, v4
	v_fmac_f32_e32 v10, 0x3ee1c552, v4
	;; [unrolled: 1-line block ×3, first 2 shown]
	v_fmamk_f32 v4, v25, 0xbf955555, v9
	v_fmamk_f32 v32, v32, 0x3d64c772, v31
	v_fma_f32 v31, 0xbf3bfb3b, v46, -v31
	v_fmac_f32_e32 v38, 0x3ee1c552, v7
	v_fmac_f32_e32 v14, 0x3ee1c552, v7
	;; [unrolled: 1-line block ×3, first 2 shown]
	v_fmamk_f32 v7, v34, 0xbf955555, v39
	v_fmac_f32_e32 v42, 0x3ee1c552, v11
	v_fmac_f32_e32 v44, 0x3ee1c552, v11
	;; [unrolled: 1-line block ×3, first 2 shown]
	v_add_f32_e32 v11, v12, v19
	v_fmac_f32_e32 v43, 0x3ee1c552, v13
	v_fmac_f32_e32 v15, 0x3ee1c552, v13
	v_fmac_f32_e32 v17, 0x3ee1c552, v13
	v_add_f32_e32 v13, v35, v19
	v_add_f32_e32 v19, v21, v19
	;; [unrolled: 1-line block ×13, first 2 shown]
	v_sub_f32_e32 v32, v13, v14
	v_add_f32_e32 v34, v10, v24
	v_add_f32_e32 v13, v14, v13
	v_sub_f32_e32 v24, v24, v10
	v_sub_f32_e32 v10, v19, v18
	;; [unrolled: 1-line block ×5, first 2 shown]
	v_add_f32_e32 v35, v16, v20
	v_add_f32_e32 v36, v37, v12
	v_add_f32_e32 v12, v43, v21
	v_add_f32_e32 v14, v17, v4
	v_sub_f32_e32 v16, v23, v15
	v_add_f32_e32 v15, v15, v23
	v_sub_f32_e32 v4, v4, v17
	v_sub_f32_e32 v17, v21, v43
	ds_write2_b32 v0, v8, v7 offset1:51
	ds_write2_b32 v0, v28, v32 offset0:102 offset1:153
	ds_write2_b32 v0, v13, v10 offset0:204 offset1:255
	;; [unrolled: 1-line block ×6, first 2 shown]
	s_waitcnt lgkmcnt(0)
	s_barrier
	buffer_gl0_inv
	ds_read2_b32 v[7:8], v0 offset1:51
	ds_read2_b32 v[13:14], v29 offset0:50 offset1:101
	ds_read2_b32 v[15:16], v29 offset0:152 offset1:203
	;; [unrolled: 1-line block ×6, first 2 shown]
	v_sub_f32_e32 v4, v22, v42
	v_sub_f32_e32 v21, v26, v45
	v_add_f32_e32 v23, v44, v25
	v_sub_f32_e32 v25, v25, v44
	v_add_f32_e32 v26, v45, v26
	v_add_f32_e32 v22, v42, v22
	s_waitcnt lgkmcnt(0)
	s_barrier
	buffer_gl0_inv
	ds_write2_b32 v0, v50, v27 offset1:51
	ds_write2_b32 v0, v31, v34 offset0:102 offset1:153
	ds_write2_b32 v0, v24, v35 offset0:204 offset1:255
	;; [unrolled: 1-line block ×6, first 2 shown]
	s_waitcnt lgkmcnt(0)
	s_barrier
	buffer_gl0_inv
	s_and_saveexec_b32 s0, vcc_lo
	s_cbranch_execz .LBB0_29
; %bb.28:
	v_add_nc_u32_e32 v21, 0x132, v3
	v_mov_b32_e32 v22, 0
	v_add_nc_u32_e32 v49, 0x400, v0
	v_add_nc_u32_e32 v45, 0x800, v0
	;; [unrolled: 1-line block ×3, first 2 shown]
	v_mul_lo_u32 v6, s2, v6
	v_lshlrev_b64 v[23:24], 3, v[21:22]
	v_mov_b32_e32 v4, v22
	v_mul_hi_u32 v51, 0x16f26017, v3
	v_add_nc_u32_e32 v55, 0xff, v3
	v_add_nc_u32_e32 v52, 0x66, v3
	;; [unrolled: 1-line block ×3, first 2 shown]
	v_add_co_u32 v21, vcc_lo, s12, v23
	v_add_co_ci_u32_e32 v26, vcc_lo, s13, v24, vcc_lo
	v_lshlrev_b64 v[23:24], 3, v[3:4]
	v_add_co_u32 v25, vcc_lo, 0x800, v21
	v_add_co_ci_u32_e32 v26, vcc_lo, 0, v26, vcc_lo
	v_lshrrev_b32_e32 v51, 5, v51
	v_add_co_u32 v4, vcc_lo, s12, v23
	v_add_co_ci_u32_e32 v21, vcc_lo, s13, v24, vcc_lo
	global_load_dwordx2 v[23:24], v[25:26], off offset:784
	v_add_co_u32 v25, vcc_lo, 0x1000, v4
	v_add_co_ci_u32_e32 v26, vcc_lo, 0, v21, vcc_lo
	v_add_co_u32 v27, vcc_lo, 0x800, v4
	v_add_co_ci_u32_e32 v28, vcc_lo, 0, v21, vcc_lo
	s_clause 0x5
	global_load_dwordx2 v[29:30], v[25:26], off offset:776
	global_load_dwordx2 v[31:32], v[27:28], off offset:784
	;; [unrolled: 1-line block ×6, first 2 shown]
	ds_read2_b32 v[37:38], v0 offset0:204 offset1:255
	ds_read2_b32 v[39:40], v0 offset0:102 offset1:153
	ds_read2_b32 v[41:42], v0 offset1:51
	v_lshlrev_b64 v[0:1], 3, v[1:2]
	v_add_nc_u32_e32 v2, 51, v3
	v_mul_lo_u32 v21, s3, v5
	v_mad_u64_u32 v[4:5], null, s2, v5, 0
	v_mul_hi_u32 v58, 0x16f26017, v52
	v_mul_hi_u32 v57, 0x16f26017, v2
	v_mul_u32_u24_e32 v51, 0x165, v51
	v_add_nc_u32_e32 v54, 0xcc, v3
	v_add_nc_u32_e32 v56, 0x132, v3
	v_mul_hi_u32 v59, 0x16f26017, v53
	v_add3_u32 v5, v5, v6, v21
	v_mul_hi_u32 v21, 0x16f26017, v55
	v_lshrrev_b32_e32 v58, 5, v58
	v_lshrrev_b32_e32 v57, 5, v57
	v_sub_nc_u32_e32 v3, v3, v51
	v_lshlrev_b64 v[4:5], 3, v[4:5]
	v_mul_hi_u32 v6, 0x16f26017, v54
	v_mul_u32_u24_e32 v51, 0x165, v58
	v_mul_hi_u32 v60, 0x16f26017, v56
	v_lshrrev_b32_e32 v65, 5, v21
	v_mul_u32_u24_e32 v21, 0x165, v57
	v_add_co_u32 v4, vcc_lo, s10, v4
	v_add_co_ci_u32_e32 v5, vcc_lo, s11, v5, vcc_lo
	v_sub_nc_u32_e32 v2, v2, v21
	v_lshlrev_b32_e32 v3, 3, v3
	v_add_co_u32 v71, vcc_lo, v4, v0
	v_add_co_ci_u32_e32 v72, vcc_lo, v5, v1, vcc_lo
	v_mad_u32_u24 v21, 0x2ca, v57, v2
	v_lshrrev_b32_e32 v59, 5, v59
	v_lshrrev_b32_e32 v6, 5, v6
	v_sub_nc_u32_e32 v64, v52, v51
	v_add_co_u32 v0, vcc_lo, v71, v3
	v_lshlrev_b64 v[2:3], 3, v[21:22]
	v_add_nc_u32_e32 v21, 0x165, v21
	v_lshrrev_b32_e32 v69, 5, v60
	v_mul_u32_u24_e32 v60, 0x165, v59
	v_mul_u32_u24_e32 v61, 0x165, v6
	v_mul_u32_u24_e32 v62, 0x165, v65
	v_lshlrev_b64 v[51:52], 3, v[21:22]
	v_mad_u32_u24 v21, 0x2ca, v58, v64
	v_mul_u32_u24_e32 v63, 0x165, v69
	v_sub_nc_u32_e32 v60, v53, v60
	v_sub_nc_u32_e32 v61, v54, v61
	;; [unrolled: 1-line block ×3, first 2 shown]
	v_lshlrev_b64 v[53:54], 3, v[21:22]
	v_add_nc_u32_e32 v21, 0x165, v21
	v_sub_nc_u32_e32 v70, v56, v63
	v_add_co_ci_u32_e32 v1, vcc_lo, 0, v72, vcc_lo
	v_add_co_u32 v4, vcc_lo, 0x800, v0
	v_lshlrev_b64 v[55:56], 3, v[21:22]
	v_mad_u32_u24 v21, 0x2ca, v59, v60
	v_add_co_ci_u32_e32 v5, vcc_lo, 0, v1, vcc_lo
	v_add_co_u32 v2, vcc_lo, v71, v2
	v_lshlrev_b64 v[57:58], 3, v[21:22]
	v_add_nc_u32_e32 v21, 0x165, v21
	v_add_co_ci_u32_e32 v3, vcc_lo, v72, v3, vcc_lo
	v_add_co_u32 v51, vcc_lo, v71, v51
	v_lshlrev_b64 v[59:60], 3, v[21:22]
	v_mad_u32_u24 v21, 0x2ca, v6, v61
	v_add_co_ci_u32_e32 v52, vcc_lo, v72, v52, vcc_lo
	v_add_co_u32 v53, vcc_lo, v71, v53
	v_lshlrev_b64 v[61:62], 3, v[21:22]
	v_add_nc_u32_e32 v21, 0x165, v21
	;; [unrolled: 8-line block ×3, first 2 shown]
	v_add_co_ci_u32_e32 v58, vcc_lo, v72, v58, vcc_lo
	ds_read2_b32 v[43:44], v49 offset0:50 offset1:101
	ds_read2_b32 v[45:46], v45 offset0:100 offset1:151
	;; [unrolled: 1-line block ×4, first 2 shown]
	v_add_co_u32 v59, vcc_lo, v71, v59
	v_add_co_ci_u32_e32 v60, vcc_lo, v72, v60, vcc_lo
	v_lshlrev_b64 v[67:68], 3, v[21:22]
	v_mad_u32_u24 v21, 0x2ca, v69, v70
	v_add_co_u32 v61, vcc_lo, v71, v61
	v_add_co_ci_u32_e32 v62, vcc_lo, v72, v62, vcc_lo
	v_add_co_u32 v63, vcc_lo, v71, v63
	v_lshlrev_b64 v[69:70], 3, v[21:22]
	v_add_nc_u32_e32 v21, 0x165, v21
	v_add_co_ci_u32_e32 v64, vcc_lo, v72, v64, vcc_lo
	v_add_co_u32 v65, vcc_lo, v71, v65
	v_add_co_ci_u32_e32 v66, vcc_lo, v72, v66, vcc_lo
	v_add_co_u32 v67, vcc_lo, v71, v67
	v_lshlrev_b64 v[21:22], 3, v[21:22]
	v_add_co_ci_u32_e32 v68, vcc_lo, v72, v68, vcc_lo
	v_add_co_u32 v69, vcc_lo, v71, v69
	v_add_co_ci_u32_e32 v70, vcc_lo, v72, v70, vcc_lo
	v_add_co_u32 v21, vcc_lo, v71, v21
	v_add_co_ci_u32_e32 v22, vcc_lo, v72, v22, vcc_lo
	s_waitcnt vmcnt(6)
	v_mul_f32_e32 v6, v20, v24
	s_waitcnt lgkmcnt(2)
	v_mul_f32_e32 v24, v46, v24
	v_fmac_f32_e32 v6, v46, v23
	s_waitcnt vmcnt(5)
	v_mul_f32_e32 v46, v19, v30
	v_mul_f32_e32 v30, v45, v30
	s_waitcnt vmcnt(3)
	v_mul_f32_e32 v71, v18, v26
	s_waitcnt lgkmcnt(1)
	v_mul_f32_e32 v26, v48, v26
	s_waitcnt vmcnt(2)
	v_mul_f32_e32 v72, v17, v34
	v_mul_f32_e32 v34, v47, v34
	s_waitcnt vmcnt(1)
	v_mul_f32_e32 v73, v16, v36
	s_waitcnt lgkmcnt(0)
	v_mul_f32_e32 v36, v50, v36
	v_mul_f32_e32 v75, v14, v32
	;; [unrolled: 1-line block ×3, first 2 shown]
	s_waitcnt vmcnt(0)
	v_mul_f32_e32 v74, v15, v28
	v_mul_f32_e32 v28, v49, v28
	v_fma_f32 v20, v20, v23, -v24
	v_sub_f32_e32 v24, v43, v6
	v_fmac_f32_e32 v46, v45, v29
	v_fma_f32 v6, v19, v29, -v30
	v_fmac_f32_e32 v71, v48, v25
	v_fma_f32 v19, v18, v25, -v26
	v_fma_f32 v25, v17, v33, -v34
	;; [unrolled: 1-line block ×3, first 2 shown]
	v_fmac_f32_e32 v75, v44, v31
	v_fma_f32 v31, v14, v31, -v32
	v_fmac_f32_e32 v74, v49, v27
	v_fma_f32 v27, v15, v27, -v28
	v_fmac_f32_e32 v73, v50, v35
	v_fmac_f32_e32 v72, v47, v33
	v_sub_f32_e32 v16, v38, v46
	v_sub_f32_e32 v15, v12, v6
	;; [unrolled: 1-line block ×13, first 2 shown]
	v_fma_f32 v32, v38, 2.0, -v16
	v_fma_f32 v31, v12, 2.0, -v15
	;; [unrolled: 1-line block ×14, first 2 shown]
	global_store_dwordx2 v[4:5], v[29:30], off offset:808
	global_store_dwordx2 v[0:1], v[37:38], off
	global_store_dwordx2 v[2:3], v[35:36], off
	;; [unrolled: 1-line block ×13, first 2 shown]
.LBB0_29:
	s_endpgm
	.section	.rodata,"a",@progbits
	.p2align	6, 0x0
	.amdhsa_kernel fft_rtc_fwd_len714_factors_3_17_7_2_wgs_51_tpt_51_halfLds_sp_op_CI_CI_unitstride_sbrr_dirReg
		.amdhsa_group_segment_fixed_size 0
		.amdhsa_private_segment_fixed_size 0
		.amdhsa_kernarg_size 104
		.amdhsa_user_sgpr_count 6
		.amdhsa_user_sgpr_private_segment_buffer 1
		.amdhsa_user_sgpr_dispatch_ptr 0
		.amdhsa_user_sgpr_queue_ptr 0
		.amdhsa_user_sgpr_kernarg_segment_ptr 1
		.amdhsa_user_sgpr_dispatch_id 0
		.amdhsa_user_sgpr_flat_scratch_init 0
		.amdhsa_user_sgpr_private_segment_size 0
		.amdhsa_wavefront_size32 1
		.amdhsa_uses_dynamic_stack 0
		.amdhsa_system_sgpr_private_segment_wavefront_offset 0
		.amdhsa_system_sgpr_workgroup_id_x 1
		.amdhsa_system_sgpr_workgroup_id_y 0
		.amdhsa_system_sgpr_workgroup_id_z 0
		.amdhsa_system_sgpr_workgroup_info 0
		.amdhsa_system_vgpr_workitem_id 0
		.amdhsa_next_free_vgpr 89
		.amdhsa_next_free_sgpr 27
		.amdhsa_reserve_vcc 1
		.amdhsa_reserve_flat_scratch 0
		.amdhsa_float_round_mode_32 0
		.amdhsa_float_round_mode_16_64 0
		.amdhsa_float_denorm_mode_32 3
		.amdhsa_float_denorm_mode_16_64 3
		.amdhsa_dx10_clamp 1
		.amdhsa_ieee_mode 1
		.amdhsa_fp16_overflow 0
		.amdhsa_workgroup_processor_mode 1
		.amdhsa_memory_ordered 1
		.amdhsa_forward_progress 0
		.amdhsa_shared_vgpr_count 0
		.amdhsa_exception_fp_ieee_invalid_op 0
		.amdhsa_exception_fp_denorm_src 0
		.amdhsa_exception_fp_ieee_div_zero 0
		.amdhsa_exception_fp_ieee_overflow 0
		.amdhsa_exception_fp_ieee_underflow 0
		.amdhsa_exception_fp_ieee_inexact 0
		.amdhsa_exception_int_div_zero 0
	.end_amdhsa_kernel
	.text
.Lfunc_end0:
	.size	fft_rtc_fwd_len714_factors_3_17_7_2_wgs_51_tpt_51_halfLds_sp_op_CI_CI_unitstride_sbrr_dirReg, .Lfunc_end0-fft_rtc_fwd_len714_factors_3_17_7_2_wgs_51_tpt_51_halfLds_sp_op_CI_CI_unitstride_sbrr_dirReg
                                        ; -- End function
	.section	.AMDGPU.csdata,"",@progbits
; Kernel info:
; codeLenInByte = 11068
; NumSgprs: 29
; NumVgprs: 89
; ScratchSize: 0
; MemoryBound: 0
; FloatMode: 240
; IeeeMode: 1
; LDSByteSize: 0 bytes/workgroup (compile time only)
; SGPRBlocks: 3
; VGPRBlocks: 11
; NumSGPRsForWavesPerEU: 29
; NumVGPRsForWavesPerEU: 89
; Occupancy: 10
; WaveLimiterHint : 1
; COMPUTE_PGM_RSRC2:SCRATCH_EN: 0
; COMPUTE_PGM_RSRC2:USER_SGPR: 6
; COMPUTE_PGM_RSRC2:TRAP_HANDLER: 0
; COMPUTE_PGM_RSRC2:TGID_X_EN: 1
; COMPUTE_PGM_RSRC2:TGID_Y_EN: 0
; COMPUTE_PGM_RSRC2:TGID_Z_EN: 0
; COMPUTE_PGM_RSRC2:TIDIG_COMP_CNT: 0
	.text
	.p2alignl 6, 3214868480
	.fill 48, 4, 3214868480
	.type	__hip_cuid_e10fa0fe4e2ba49d,@object ; @__hip_cuid_e10fa0fe4e2ba49d
	.section	.bss,"aw",@nobits
	.globl	__hip_cuid_e10fa0fe4e2ba49d
__hip_cuid_e10fa0fe4e2ba49d:
	.byte	0                               ; 0x0
	.size	__hip_cuid_e10fa0fe4e2ba49d, 1

	.ident	"AMD clang version 19.0.0git (https://github.com/RadeonOpenCompute/llvm-project roc-6.4.0 25133 c7fe45cf4b819c5991fe208aaa96edf142730f1d)"
	.section	".note.GNU-stack","",@progbits
	.addrsig
	.addrsig_sym __hip_cuid_e10fa0fe4e2ba49d
	.amdgpu_metadata
---
amdhsa.kernels:
  - .args:
      - .actual_access:  read_only
        .address_space:  global
        .offset:         0
        .size:           8
        .value_kind:     global_buffer
      - .offset:         8
        .size:           8
        .value_kind:     by_value
      - .actual_access:  read_only
        .address_space:  global
        .offset:         16
        .size:           8
        .value_kind:     global_buffer
      - .actual_access:  read_only
        .address_space:  global
        .offset:         24
        .size:           8
        .value_kind:     global_buffer
      - .actual_access:  read_only
        .address_space:  global
        .offset:         32
        .size:           8
        .value_kind:     global_buffer
      - .offset:         40
        .size:           8
        .value_kind:     by_value
      - .actual_access:  read_only
        .address_space:  global
        .offset:         48
        .size:           8
        .value_kind:     global_buffer
      - .actual_access:  read_only
        .address_space:  global
        .offset:         56
        .size:           8
        .value_kind:     global_buffer
      - .offset:         64
        .size:           4
        .value_kind:     by_value
      - .actual_access:  read_only
        .address_space:  global
        .offset:         72
        .size:           8
        .value_kind:     global_buffer
      - .actual_access:  read_only
        .address_space:  global
        .offset:         80
        .size:           8
        .value_kind:     global_buffer
      - .actual_access:  read_only
        .address_space:  global
        .offset:         88
        .size:           8
        .value_kind:     global_buffer
      - .actual_access:  write_only
        .address_space:  global
        .offset:         96
        .size:           8
        .value_kind:     global_buffer
    .group_segment_fixed_size: 0
    .kernarg_segment_align: 8
    .kernarg_segment_size: 104
    .language:       OpenCL C
    .language_version:
      - 2
      - 0
    .max_flat_workgroup_size: 51
    .name:           fft_rtc_fwd_len714_factors_3_17_7_2_wgs_51_tpt_51_halfLds_sp_op_CI_CI_unitstride_sbrr_dirReg
    .private_segment_fixed_size: 0
    .sgpr_count:     29
    .sgpr_spill_count: 0
    .symbol:         fft_rtc_fwd_len714_factors_3_17_7_2_wgs_51_tpt_51_halfLds_sp_op_CI_CI_unitstride_sbrr_dirReg.kd
    .uniform_work_group_size: 1
    .uses_dynamic_stack: false
    .vgpr_count:     89
    .vgpr_spill_count: 0
    .wavefront_size: 32
    .workgroup_processor_mode: 1
amdhsa.target:   amdgcn-amd-amdhsa--gfx1030
amdhsa.version:
  - 1
  - 2
...

	.end_amdgpu_metadata
